;; amdgpu-corpus repo=ROCm/rocFFT kind=compiled arch=gfx1100 opt=O3
	.text
	.amdgcn_target "amdgcn-amd-amdhsa--gfx1100"
	.amdhsa_code_object_version 6
	.protected	fft_rtc_fwd_len2430_factors_10_3_3_3_3_3_wgs_81_tpt_81_halfLds_dp_op_CI_CI_unitstride_sbrr_C2R_dirReg ; -- Begin function fft_rtc_fwd_len2430_factors_10_3_3_3_3_3_wgs_81_tpt_81_halfLds_dp_op_CI_CI_unitstride_sbrr_C2R_dirReg
	.globl	fft_rtc_fwd_len2430_factors_10_3_3_3_3_3_wgs_81_tpt_81_halfLds_dp_op_CI_CI_unitstride_sbrr_C2R_dirReg
	.p2align	8
	.type	fft_rtc_fwd_len2430_factors_10_3_3_3_3_3_wgs_81_tpt_81_halfLds_dp_op_CI_CI_unitstride_sbrr_C2R_dirReg,@function
fft_rtc_fwd_len2430_factors_10_3_3_3_3_3_wgs_81_tpt_81_halfLds_dp_op_CI_CI_unitstride_sbrr_C2R_dirReg: ; @fft_rtc_fwd_len2430_factors_10_3_3_3_3_3_wgs_81_tpt_81_halfLds_dp_op_CI_CI_unitstride_sbrr_C2R_dirReg
; %bb.0:
	s_clause 0x2
	s_load_b128 s[8:11], s[0:1], 0x0
	s_load_b128 s[4:7], s[0:1], 0x58
	;; [unrolled: 1-line block ×3, first 2 shown]
	v_mul_u32_u24_e32 v1, 0x32a, v0
	v_mov_b32_e32 v3, 0
	s_delay_alu instid0(VALU_DEP_2) | instskip(NEXT) | instid1(VALU_DEP_1)
	v_lshrrev_b32_e32 v1, 16, v1
	v_add_nc_u32_e32 v5, s15, v1
	v_mov_b32_e32 v1, 0
	v_mov_b32_e32 v2, 0
	;; [unrolled: 1-line block ×3, first 2 shown]
	s_waitcnt lgkmcnt(0)
	v_cmp_lt_u64_e64 s2, s[10:11], 2
	s_delay_alu instid0(VALU_DEP_1)
	s_and_b32 vcc_lo, exec_lo, s2
	s_cbranch_vccnz .LBB0_8
; %bb.1:
	s_load_b64 s[2:3], s[0:1], 0x10
	s_add_u32 s12, s18, 8
	v_mov_b32_e32 v1, 0
	s_addc_u32 s13, s19, 0
	v_mov_b32_e32 v2, 0
	s_add_u32 s14, s16, 8
	s_addc_u32 s15, s17, 0
	s_mov_b64 s[22:23], 1
	scratch_store_b64 off, v[1:2], off offset:8 ; 8-byte Folded Spill
	s_waitcnt lgkmcnt(0)
	s_add_u32 s20, s2, 8
	s_addc_u32 s21, s3, 0
.LBB0_2:                                ; =>This Inner Loop Header: Depth=1
	s_load_b64 s[24:25], s[20:21], 0x0
                                        ; implicit-def: $vgpr7_vgpr8
                                        ; kill: killed $vgpr7_vgpr8
	s_mov_b32 s2, exec_lo
	s_waitcnt lgkmcnt(0)
	v_or_b32_e32 v4, s25, v6
	s_delay_alu instid0(VALU_DEP_1)
	v_cmpx_ne_u64_e32 0, v[3:4]
	s_xor_b32 s3, exec_lo, s2
	s_cbranch_execz .LBB0_4
; %bb.3:                                ;   in Loop: Header=BB0_2 Depth=1
	v_cvt_f32_u32_e32 v4, s24
	v_cvt_f32_u32_e32 v7, s25
	s_sub_u32 s2, 0, s24
	s_subb_u32 s26, 0, s25
	s_delay_alu instid0(VALU_DEP_1) | instskip(NEXT) | instid1(VALU_DEP_1)
	v_fmac_f32_e32 v4, 0x4f800000, v7
	v_rcp_f32_e32 v4, v4
	s_waitcnt_depctr 0xfff
	v_mul_f32_e32 v4, 0x5f7ffffc, v4
	s_delay_alu instid0(VALU_DEP_1) | instskip(NEXT) | instid1(VALU_DEP_1)
	v_mul_f32_e32 v7, 0x2f800000, v4
	v_trunc_f32_e32 v7, v7
	s_delay_alu instid0(VALU_DEP_1) | instskip(SKIP_1) | instid1(VALU_DEP_2)
	v_fmac_f32_e32 v4, 0xcf800000, v7
	v_cvt_u32_f32_e32 v7, v7
	v_cvt_u32_f32_e32 v4, v4
	s_delay_alu instid0(VALU_DEP_2) | instskip(NEXT) | instid1(VALU_DEP_2)
	v_mul_lo_u32 v8, s2, v7
	v_mul_hi_u32 v9, s2, v4
	v_mul_lo_u32 v10, s26, v4
	s_delay_alu instid0(VALU_DEP_2) | instskip(SKIP_1) | instid1(VALU_DEP_2)
	v_add_nc_u32_e32 v8, v9, v8
	v_mul_lo_u32 v9, s2, v4
	v_add_nc_u32_e32 v8, v8, v10
	s_delay_alu instid0(VALU_DEP_2) | instskip(NEXT) | instid1(VALU_DEP_2)
	v_mul_hi_u32 v10, v4, v9
	v_mul_lo_u32 v11, v4, v8
	v_mul_hi_u32 v12, v4, v8
	v_mul_hi_u32 v13, v7, v9
	v_mul_lo_u32 v9, v7, v9
	v_mul_hi_u32 v14, v7, v8
	v_mul_lo_u32 v8, v7, v8
	v_add_co_u32 v10, vcc_lo, v10, v11
	v_add_co_ci_u32_e32 v11, vcc_lo, 0, v12, vcc_lo
	s_delay_alu instid0(VALU_DEP_2) | instskip(NEXT) | instid1(VALU_DEP_2)
	v_add_co_u32 v9, vcc_lo, v10, v9
	v_add_co_ci_u32_e32 v9, vcc_lo, v11, v13, vcc_lo
	v_add_co_ci_u32_e32 v10, vcc_lo, 0, v14, vcc_lo
	s_delay_alu instid0(VALU_DEP_2) | instskip(NEXT) | instid1(VALU_DEP_2)
	v_add_co_u32 v8, vcc_lo, v9, v8
	v_add_co_ci_u32_e32 v9, vcc_lo, 0, v10, vcc_lo
	s_delay_alu instid0(VALU_DEP_2) | instskip(NEXT) | instid1(VALU_DEP_2)
	v_add_co_u32 v4, vcc_lo, v4, v8
	v_add_co_ci_u32_e32 v7, vcc_lo, v7, v9, vcc_lo
	s_delay_alu instid0(VALU_DEP_2) | instskip(SKIP_1) | instid1(VALU_DEP_3)
	v_mul_hi_u32 v8, s2, v4
	v_mul_lo_u32 v10, s26, v4
	v_mul_lo_u32 v9, s2, v7
	s_delay_alu instid0(VALU_DEP_1) | instskip(SKIP_1) | instid1(VALU_DEP_2)
	v_add_nc_u32_e32 v8, v8, v9
	v_mul_lo_u32 v9, s2, v4
	v_add_nc_u32_e32 v8, v8, v10
	s_delay_alu instid0(VALU_DEP_2) | instskip(NEXT) | instid1(VALU_DEP_2)
	v_mul_hi_u32 v10, v4, v9
	v_mul_lo_u32 v11, v4, v8
	v_mul_hi_u32 v12, v4, v8
	v_mul_hi_u32 v13, v7, v9
	v_mul_lo_u32 v9, v7, v9
	v_mul_hi_u32 v14, v7, v8
	v_mul_lo_u32 v8, v7, v8
	v_add_co_u32 v10, vcc_lo, v10, v11
	v_add_co_ci_u32_e32 v11, vcc_lo, 0, v12, vcc_lo
	s_delay_alu instid0(VALU_DEP_2) | instskip(NEXT) | instid1(VALU_DEP_2)
	v_add_co_u32 v9, vcc_lo, v10, v9
	v_add_co_ci_u32_e32 v9, vcc_lo, v11, v13, vcc_lo
	v_add_co_ci_u32_e32 v10, vcc_lo, 0, v14, vcc_lo
	s_delay_alu instid0(VALU_DEP_2) | instskip(NEXT) | instid1(VALU_DEP_2)
	v_add_co_u32 v8, vcc_lo, v9, v8
	v_add_co_ci_u32_e32 v9, vcc_lo, 0, v10, vcc_lo
	s_delay_alu instid0(VALU_DEP_2) | instskip(NEXT) | instid1(VALU_DEP_2)
	v_add_co_u32 v4, vcc_lo, v4, v8
	v_add_co_ci_u32_e32 v13, vcc_lo, v7, v9, vcc_lo
	s_delay_alu instid0(VALU_DEP_2) | instskip(SKIP_1) | instid1(VALU_DEP_3)
	v_mul_hi_u32 v14, v5, v4
	v_mad_u64_u32 v[9:10], null, v6, v4, 0
	v_mad_u64_u32 v[7:8], null, v5, v13, 0
	;; [unrolled: 1-line block ×3, first 2 shown]
	s_delay_alu instid0(VALU_DEP_2) | instskip(NEXT) | instid1(VALU_DEP_3)
	v_add_co_u32 v4, vcc_lo, v14, v7
	v_add_co_ci_u32_e32 v7, vcc_lo, 0, v8, vcc_lo
	s_delay_alu instid0(VALU_DEP_2) | instskip(NEXT) | instid1(VALU_DEP_2)
	v_add_co_u32 v4, vcc_lo, v4, v9
	v_add_co_ci_u32_e32 v4, vcc_lo, v7, v10, vcc_lo
	v_add_co_ci_u32_e32 v7, vcc_lo, 0, v12, vcc_lo
	s_delay_alu instid0(VALU_DEP_2) | instskip(NEXT) | instid1(VALU_DEP_2)
	v_add_co_u32 v4, vcc_lo, v4, v11
	v_add_co_ci_u32_e32 v9, vcc_lo, 0, v7, vcc_lo
	s_delay_alu instid0(VALU_DEP_2) | instskip(SKIP_1) | instid1(VALU_DEP_3)
	v_mul_lo_u32 v10, s25, v4
	v_mad_u64_u32 v[7:8], null, s24, v4, 0
	v_mul_lo_u32 v11, s24, v9
	s_delay_alu instid0(VALU_DEP_2) | instskip(NEXT) | instid1(VALU_DEP_2)
	v_sub_co_u32 v7, vcc_lo, v5, v7
	v_add3_u32 v8, v8, v11, v10
	s_delay_alu instid0(VALU_DEP_1) | instskip(NEXT) | instid1(VALU_DEP_1)
	v_sub_nc_u32_e32 v10, v6, v8
	v_subrev_co_ci_u32_e64 v10, s2, s25, v10, vcc_lo
	v_add_co_u32 v11, s2, v4, 2
	s_delay_alu instid0(VALU_DEP_1) | instskip(SKIP_3) | instid1(VALU_DEP_3)
	v_add_co_ci_u32_e64 v12, s2, 0, v9, s2
	v_sub_co_u32 v13, s2, v7, s24
	v_sub_co_ci_u32_e32 v8, vcc_lo, v6, v8, vcc_lo
	v_subrev_co_ci_u32_e64 v10, s2, 0, v10, s2
	v_cmp_le_u32_e32 vcc_lo, s24, v13
	s_delay_alu instid0(VALU_DEP_3) | instskip(SKIP_1) | instid1(VALU_DEP_4)
	v_cmp_eq_u32_e64 s2, s25, v8
	v_cndmask_b32_e64 v13, 0, -1, vcc_lo
	v_cmp_le_u32_e32 vcc_lo, s25, v10
	v_cndmask_b32_e64 v14, 0, -1, vcc_lo
	v_cmp_le_u32_e32 vcc_lo, s24, v7
	;; [unrolled: 2-line block ×3, first 2 shown]
	v_cndmask_b32_e64 v15, 0, -1, vcc_lo
	v_cmp_eq_u32_e32 vcc_lo, s25, v10
	s_delay_alu instid0(VALU_DEP_2) | instskip(SKIP_3) | instid1(VALU_DEP_3)
	v_cndmask_b32_e64 v7, v15, v7, s2
	v_cndmask_b32_e32 v10, v14, v13, vcc_lo
	v_add_co_u32 v13, vcc_lo, v4, 1
	v_add_co_ci_u32_e32 v14, vcc_lo, 0, v9, vcc_lo
	v_cmp_ne_u32_e32 vcc_lo, 0, v10
	s_delay_alu instid0(VALU_DEP_2) | instskip(NEXT) | instid1(VALU_DEP_4)
	v_cndmask_b32_e32 v8, v14, v12, vcc_lo
	v_cndmask_b32_e32 v10, v13, v11, vcc_lo
	v_cmp_ne_u32_e32 vcc_lo, 0, v7
	s_delay_alu instid0(VALU_DEP_2)
	v_dual_cndmask_b32 v7, v4, v10 :: v_dual_cndmask_b32 v8, v9, v8
	scratch_store_b64 off, v[7:8], off      ; 8-byte Folded Spill
.LBB0_4:                                ;   in Loop: Header=BB0_2 Depth=1
	s_and_not1_saveexec_b32 s2, s3
	s_cbranch_execz .LBB0_6
; %bb.5:                                ;   in Loop: Header=BB0_2 Depth=1
	v_cvt_f32_u32_e32 v4, s24
	s_sub_i32 s3, 0, s24
	s_delay_alu instid0(VALU_DEP_1) | instskip(SKIP_2) | instid1(VALU_DEP_1)
	v_rcp_iflag_f32_e32 v4, v4
	s_waitcnt_depctr 0xfff
	v_mul_f32_e32 v4, 0x4f7ffffe, v4
	v_cvt_u32_f32_e32 v4, v4
	s_delay_alu instid0(VALU_DEP_1) | instskip(NEXT) | instid1(VALU_DEP_1)
	v_mul_lo_u32 v7, s3, v4
	v_mul_hi_u32 v7, v4, v7
	s_delay_alu instid0(VALU_DEP_1) | instskip(NEXT) | instid1(VALU_DEP_1)
	v_add_nc_u32_e32 v4, v4, v7
	v_mul_hi_u32 v4, v5, v4
	s_delay_alu instid0(VALU_DEP_1) | instskip(SKIP_1) | instid1(VALU_DEP_2)
	v_mul_lo_u32 v7, v4, s24
	v_add_nc_u32_e32 v8, 1, v4
	v_sub_nc_u32_e32 v7, v5, v7
	s_delay_alu instid0(VALU_DEP_1) | instskip(SKIP_1) | instid1(VALU_DEP_2)
	v_subrev_nc_u32_e32 v9, s24, v7
	v_cmp_le_u32_e32 vcc_lo, s24, v7
	v_dual_cndmask_b32 v7, v7, v9 :: v_dual_cndmask_b32 v4, v4, v8
	s_delay_alu instid0(VALU_DEP_1) | instskip(NEXT) | instid1(VALU_DEP_2)
	v_cmp_le_u32_e32 vcc_lo, s24, v7
	v_add_nc_u32_e32 v8, 1, v4
	s_delay_alu instid0(VALU_DEP_1)
	v_dual_cndmask_b32 v7, v4, v8 :: v_dual_mov_b32 v8, v3
	scratch_store_b64 off, v[7:8], off      ; 8-byte Folded Spill
.LBB0_6:                                ;   in Loop: Header=BB0_2 Depth=1
	s_or_b32 exec_lo, exec_lo, s2
	scratch_load_b64 v[13:14], off, off     ; 8-byte Folded Reload
	s_load_b64 s[2:3], s[14:15], 0x0
	s_add_u32 s22, s22, 1
	s_addc_u32 s23, s23, 0
	s_waitcnt vmcnt(0)
	v_mul_lo_u32 v4, v14, s24
	v_mul_lo_u32 v9, v13, s25
	v_mad_u64_u32 v[7:8], null, v13, s24, 0
	s_load_b64 s[24:25], s[12:13], 0x0
	s_add_u32 s12, s12, 8
	s_addc_u32 s13, s13, 0
	s_add_u32 s14, s14, 8
	s_addc_u32 s15, s15, 0
	s_add_u32 s20, s20, 8
	s_delay_alu instid0(VALU_DEP_1) | instskip(SKIP_2) | instid1(VALU_DEP_2)
	v_add3_u32 v4, v8, v9, v4
	v_sub_co_u32 v8, vcc_lo, v5, v7
	s_addc_u32 s21, s21, 0
	v_sub_co_ci_u32_e32 v6, vcc_lo, v6, v4, vcc_lo
	s_waitcnt lgkmcnt(0)
	s_delay_alu instid0(VALU_DEP_2)
	v_mad_u64_u32 v[4:5], null, s2, v8, v[1:2]
	scratch_load_b64 v[1:2], off, off offset:8 ; 8-byte Folded Reload
	v_mul_lo_u32 v9, s2, v6
	v_mul_lo_u32 v10, s3, v8
	v_cmp_ge_u64_e64 s2, s[22:23], s[10:11]
	v_mul_lo_u32 v11, s24, v6
	v_mul_lo_u32 v12, s25, v8
	s_delay_alu instid0(VALU_DEP_3) | instskip(SKIP_4) | instid1(VALU_DEP_3)
	s_and_b32 vcc_lo, exec_lo, s2
	s_waitcnt vmcnt(0)
	v_mad_u64_u32 v[6:7], null, s24, v8, v[1:2]
	v_add3_u32 v2, v10, v5, v9
	v_mov_b32_e32 v1, v4
	v_add3_u32 v7, v12, v7, v11
	scratch_store_b64 off, v[6:7], off offset:8 ; 8-byte Folded Spill
	s_cbranch_vccnz .LBB0_9
; %bb.7:                                ;   in Loop: Header=BB0_2 Depth=1
	v_dual_mov_b32 v5, v13 :: v_dual_mov_b32 v6, v14
	s_branch .LBB0_2
.LBB0_8:
	s_clause 0x1
	scratch_store_b64 off, v[1:2], off offset:8
	scratch_store_b64 off, v[5:6], off
.LBB0_9:
	scratch_load_b64 v[4:5], off, off       ; 8-byte Folded Reload
	s_load_b64 s[0:1], s[0:1], 0x28
	v_mul_hi_u32 v3, 0x3291620, v0
	s_lshl_b64 s[10:11], s[10:11], 3
                                        ; implicit-def: $vgpr81
	s_delay_alu instid0(SALU_CYCLE_1) | instskip(SKIP_4) | instid1(VALU_DEP_1)
	s_add_u32 s2, s18, s10
	s_addc_u32 s3, s19, s11
	s_waitcnt vmcnt(0) lgkmcnt(0)
	v_cmp_gt_u64_e32 vcc_lo, s[0:1], v[4:5]
	v_cmp_le_u64_e64 s0, s[0:1], v[4:5]
	s_and_saveexec_b32 s1, s0
	s_delay_alu instid0(SALU_CYCLE_1)
	s_xor_b32 s0, exec_lo, s1
; %bb.10:
	v_mul_u32_u24_e32 v1, 0x51, v3
                                        ; implicit-def: $vgpr3
	s_delay_alu instid0(VALU_DEP_1)
	v_sub_nc_u32_e32 v81, v0, v1
                                        ; implicit-def: $vgpr0
                                        ; implicit-def: $vgpr1_vgpr2
; %bb.11:
	s_or_saveexec_b32 s1, s0
	s_load_b64 s[2:3], s[2:3], 0x0
	s_xor_b32 exec_lo, exec_lo, s1
	s_cbranch_execz .LBB0_15
; %bb.12:
	scratch_load_b64 v[8:9], off, off       ; 8-byte Folded Reload
	s_add_u32 s10, s16, s10
	s_addc_u32 s11, s17, s11
	v_lshlrev_b64 v[1:2], 4, v[1:2]
	s_load_b64 s[10:11], s[10:11], 0x0
	s_waitcnt vmcnt(0) lgkmcnt(0)
	v_mul_lo_u32 v6, s11, v8
	v_mul_lo_u32 v7, s10, v9
	v_mad_u64_u32 v[4:5], null, s10, v8, 0
	s_delay_alu instid0(VALU_DEP_1) | instskip(SKIP_1) | instid1(VALU_DEP_2)
	v_add3_u32 v5, v5, v7, v6
	v_mul_u32_u24_e32 v6, 0x51, v3
	v_lshlrev_b64 v[3:4], 4, v[4:5]
	s_delay_alu instid0(VALU_DEP_2) | instskip(NEXT) | instid1(VALU_DEP_1)
	v_sub_nc_u32_e32 v81, v0, v6
	v_lshlrev_b32_e32 v80, 4, v81
	s_delay_alu instid0(VALU_DEP_3) | instskip(NEXT) | instid1(VALU_DEP_1)
	v_add_co_u32 v0, s0, s4, v3
	v_add_co_ci_u32_e64 v3, s0, s5, v4, s0
	s_delay_alu instid0(VALU_DEP_2) | instskip(NEXT) | instid1(VALU_DEP_1)
	v_add_co_u32 v0, s0, v0, v1
	v_add_co_ci_u32_e64 v1, s0, v3, v2, s0
	s_delay_alu instid0(VALU_DEP_2) | instskip(NEXT) | instid1(VALU_DEP_1)
	v_add_co_u32 v34, s0, v0, v80
	v_add_co_ci_u32_e64 v35, s0, 0, v1, s0
	s_clause 0x3
	global_load_b128 v[2:5], v[34:35], off
	global_load_b128 v[6:9], v[34:35], off offset:1296
	global_load_b128 v[10:13], v[34:35], off offset:2592
	;; [unrolled: 1-line block ×3, first 2 shown]
	v_add_co_u32 v26, s0, 0x1000, v34
	s_delay_alu instid0(VALU_DEP_1) | instskip(SKIP_1) | instid1(VALU_DEP_1)
	v_add_co_ci_u32_e64 v27, s0, 0, v35, s0
	v_add_co_u32 v38, s0, 0x2000, v34
	v_add_co_ci_u32_e64 v39, s0, 0, v35, s0
	v_add_co_u32 v50, s0, 0x3000, v34
	s_delay_alu instid0(VALU_DEP_1) | instskip(SKIP_1) | instid1(VALU_DEP_1)
	v_add_co_ci_u32_e64 v51, s0, 0, v35, s0
	v_add_co_u32 v62, s0, 0x4000, v34
	v_add_co_ci_u32_e64 v63, s0, 0, v35, s0
	;; [unrolled: 5-line block ×4, first 2 shown]
	v_add_co_u32 v126, s0, 0x9000, v34
	s_delay_alu instid0(VALU_DEP_1)
	v_add_co_ci_u32_e64 v127, s0, 0, v35, s0
	s_clause 0x19
	global_load_b128 v[18:21], v[26:27], off offset:1088
	global_load_b128 v[22:25], v[26:27], off offset:2384
	;; [unrolled: 1-line block ×26, first 2 shown]
	v_add_nc_u32_e32 v78, 0, v80
	v_cmp_eq_u32_e64 s0, 0x50, v81
	s_waitcnt vmcnt(29)
	ds_store_b128 v78, v[2:5]
	s_waitcnt vmcnt(28)
	ds_store_b128 v78, v[6:9] offset:1296
	s_waitcnt vmcnt(27)
	ds_store_b128 v78, v[10:13] offset:2592
	;; [unrolled: 2-line block ×29, first 2 shown]
	s_and_saveexec_b32 s4, s0
	s_cbranch_execz .LBB0_14
; %bb.13:
	v_add_co_u32 v0, s0, 0x9000, v0
	s_delay_alu instid0(VALU_DEP_1)
	v_add_co_ci_u32_e64 v1, s0, 0, v1, s0
	v_dual_mov_b32 v4, 0 :: v_dual_mov_b32 v81, 0x50
	global_load_b128 v[0:3], v[0:1], off offset:2016
	s_waitcnt vmcnt(0)
	ds_store_b128 v4, v[0:3] offset:38880
.LBB0_14:
	s_or_b32 exec_lo, exec_lo, s4
.LBB0_15:
	s_delay_alu instid0(SALU_CYCLE_1)
	s_or_b32 exec_lo, exec_lo, s1
	v_lshlrev_b32_e32 v0, 4, v81
	s_waitcnt lgkmcnt(0)
	s_waitcnt_vscnt null, 0x0
	s_barrier
	buffer_gl0_inv
	s_add_u32 s1, s8, 0x9740
	v_add_nc_u32_e32 v114, 0, v0
	v_sub_nc_u32_e32 v10, 0, v0
	s_addc_u32 s4, s9, 0
	s_mov_b32 s5, exec_lo
                                        ; implicit-def: $vgpr4_vgpr5
	ds_load_b64 v[6:7], v114
	ds_load_b64 v[8:9], v10 offset:38880
	s_waitcnt lgkmcnt(0)
	v_add_f64 v[0:1], v[6:7], v[8:9]
	v_add_f64 v[2:3], v[6:7], -v[8:9]
	v_cmpx_ne_u32_e32 0, v81
	s_xor_b32 s5, exec_lo, s5
	s_cbranch_execz .LBB0_17
; %bb.16:
	v_mov_b32_e32 v82, 0
	v_add_f64 v[13:14], v[6:7], v[8:9]
	v_add_f64 v[15:16], v[6:7], -v[8:9]
	s_delay_alu instid0(VALU_DEP_3) | instskip(NEXT) | instid1(VALU_DEP_1)
	v_lshlrev_b64 v[0:1], 4, v[81:82]
	v_add_co_u32 v0, s0, s1, v0
	s_delay_alu instid0(VALU_DEP_1)
	v_add_co_ci_u32_e64 v1, s0, s4, v1, s0
	global_load_b128 v[2:5], v[0:1], off
	ds_load_b64 v[0:1], v10 offset:38888
	ds_load_b64 v[11:12], v114 offset:8
	s_waitcnt lgkmcnt(0)
	v_add_f64 v[6:7], v[0:1], v[11:12]
	v_add_f64 v[0:1], v[11:12], -v[0:1]
	s_waitcnt vmcnt(0)
	v_fma_f64 v[8:9], v[15:16], v[4:5], v[13:14]
	v_fma_f64 v[11:12], -v[15:16], v[4:5], v[13:14]
	s_delay_alu instid0(VALU_DEP_3) | instskip(SKIP_1) | instid1(VALU_DEP_4)
	v_fma_f64 v[13:14], v[6:7], v[4:5], -v[0:1]
	v_fma_f64 v[4:5], v[6:7], v[4:5], v[0:1]
	v_fma_f64 v[0:1], -v[6:7], v[2:3], v[8:9]
	s_delay_alu instid0(VALU_DEP_4) | instskip(NEXT) | instid1(VALU_DEP_4)
	v_fma_f64 v[6:7], v[6:7], v[2:3], v[11:12]
	v_fma_f64 v[8:9], v[15:16], v[2:3], v[13:14]
	s_delay_alu instid0(VALU_DEP_4)
	v_fma_f64 v[2:3], v[15:16], v[2:3], v[4:5]
	v_dual_mov_b32 v4, v81 :: v_dual_mov_b32 v5, v82
	ds_store_b128 v10, v[6:9] offset:38880
.LBB0_17:
	s_and_not1_saveexec_b32 s0, s5
	s_cbranch_execz .LBB0_19
; %bb.18:
	v_mov_b32_e32 v8, 0
	ds_load_b128 v[4:7], v8 offset:19440
	s_waitcnt lgkmcnt(0)
	v_add_f64 v[11:12], v[4:5], v[4:5]
	v_mul_f64 v[13:14], v[6:7], -2.0
	v_mov_b32_e32 v4, 0
	v_mov_b32_e32 v5, 0
	ds_store_b128 v8, v[11:14] offset:19440
.LBB0_19:
	s_or_b32 exec_lo, exec_lo, s0
	v_lshlrev_b64 v[4:5], 4, v[4:5]
	v_add_nc_u32_e32 v84, 0x195, v81
	v_add_nc_u32_e32 v60, 0x1e6, v81
	v_dual_mov_b32 v42, v81 :: v_dual_and_b32 v43, 0xff, v81
	v_add_nc_u32_e32 v129, 0x237, v81
	v_add_co_u32 v4, s0, s1, v4
	s_delay_alu instid0(VALU_DEP_1)
	v_add_co_ci_u32_e64 v5, s0, s4, v5, s0
	v_add_nc_u32_e32 v85, 0x144, v81
	s_mov_b32 s4, 0x134454ff
	s_mov_b32 s5, 0x3fee6f0e
	s_clause 0x1
	global_load_b128 v[6:9], v[4:5], off offset:1296
	global_load_b128 v[11:14], v[4:5], off offset:2592
	ds_store_b128 v114, v[0:3]
	ds_load_b128 v[0:3], v114 offset:1296
	ds_load_b128 v[15:18], v10 offset:37584
	global_load_b128 v[19:22], v[4:5], off offset:3888
	s_mov_b32 s13, 0xbfee6f0e
	s_mov_b32 s12, s4
	;; [unrolled: 1-line block ×7, first 2 shown]
	s_waitcnt lgkmcnt(0)
	v_add_f64 v[23:24], v[0:1], v[15:16]
	v_add_f64 v[25:26], v[17:18], v[2:3]
	v_add_f64 v[27:28], v[0:1], -v[15:16]
	v_add_f64 v[0:1], v[2:3], -v[17:18]
	s_waitcnt vmcnt(2)
	s_delay_alu instid0(VALU_DEP_2) | instskip(NEXT) | instid1(VALU_DEP_2)
	v_fma_f64 v[2:3], v[27:28], v[8:9], v[23:24]
	v_fma_f64 v[15:16], v[25:26], v[8:9], v[0:1]
	v_fma_f64 v[17:18], -v[27:28], v[8:9], v[23:24]
	v_fma_f64 v[8:9], v[25:26], v[8:9], -v[0:1]
	v_add_co_u32 v23, s0, 0x1000, v4
	s_delay_alu instid0(VALU_DEP_1)
	v_add_co_ci_u32_e64 v24, s0, 0, v5, s0
	v_fma_f64 v[0:1], -v[25:26], v[6:7], v[2:3]
	v_fma_f64 v[2:3], v[27:28], v[6:7], v[15:16]
	v_fma_f64 v[15:16], v[25:26], v[6:7], v[17:18]
	;; [unrolled: 1-line block ×3, first 2 shown]
	ds_store_b128 v114, v[0:3] offset:1296
	ds_store_b128 v10, v[15:18] offset:37584
	ds_load_b128 v[0:3], v114 offset:2592
	ds_load_b128 v[6:9], v10 offset:36288
	global_load_b128 v[15:18], v[23:24], off offset:1088
	s_waitcnt lgkmcnt(0)
	v_add_f64 v[25:26], v[0:1], v[6:7]
	v_add_f64 v[27:28], v[8:9], v[2:3]
	v_add_f64 v[29:30], v[0:1], -v[6:7]
	v_add_f64 v[0:1], v[2:3], -v[8:9]
	s_waitcnt vmcnt(2)
	s_delay_alu instid0(VALU_DEP_2) | instskip(NEXT) | instid1(VALU_DEP_2)
	v_fma_f64 v[2:3], v[29:30], v[13:14], v[25:26]
	v_fma_f64 v[6:7], v[27:28], v[13:14], v[0:1]
	v_fma_f64 v[8:9], -v[29:30], v[13:14], v[25:26]
	v_fma_f64 v[13:14], v[27:28], v[13:14], -v[0:1]
	s_delay_alu instid0(VALU_DEP_4) | instskip(NEXT) | instid1(VALU_DEP_4)
	v_fma_f64 v[0:1], -v[27:28], v[11:12], v[2:3]
	v_fma_f64 v[2:3], v[29:30], v[11:12], v[6:7]
	s_delay_alu instid0(VALU_DEP_4) | instskip(NEXT) | instid1(VALU_DEP_4)
	v_fma_f64 v[6:7], v[27:28], v[11:12], v[8:9]
	v_fma_f64 v[8:9], v[29:30], v[11:12], v[13:14]
	ds_store_b128 v114, v[0:3] offset:2592
	ds_store_b128 v10, v[6:9] offset:36288
	ds_load_b128 v[0:3], v114 offset:3888
	ds_load_b128 v[6:9], v10 offset:34992
	global_load_b128 v[11:14], v[23:24], off offset:2384
	s_waitcnt lgkmcnt(0)
	v_add_f64 v[25:26], v[0:1], v[6:7]
	v_add_f64 v[27:28], v[8:9], v[2:3]
	v_add_f64 v[29:30], v[0:1], -v[6:7]
	v_add_f64 v[0:1], v[2:3], -v[8:9]
	s_waitcnt vmcnt(2)
	s_delay_alu instid0(VALU_DEP_2) | instskip(NEXT) | instid1(VALU_DEP_2)
	v_fma_f64 v[2:3], v[29:30], v[21:22], v[25:26]
	v_fma_f64 v[6:7], v[27:28], v[21:22], v[0:1]
	v_fma_f64 v[8:9], -v[29:30], v[21:22], v[25:26]
	v_fma_f64 v[21:22], v[27:28], v[21:22], -v[0:1]
	s_delay_alu instid0(VALU_DEP_4) | instskip(NEXT) | instid1(VALU_DEP_4)
	v_fma_f64 v[0:1], -v[27:28], v[19:20], v[2:3]
	v_fma_f64 v[2:3], v[29:30], v[19:20], v[6:7]
	s_delay_alu instid0(VALU_DEP_4) | instskip(NEXT) | instid1(VALU_DEP_4)
	v_fma_f64 v[6:7], v[27:28], v[19:20], v[8:9]
	v_fma_f64 v[8:9], v[29:30], v[19:20], v[21:22]
	ds_store_b128 v114, v[0:3] offset:3888
	ds_store_b128 v10, v[6:9] offset:34992
	ds_load_b128 v[0:3], v114 offset:5184
	ds_load_b128 v[6:9], v10 offset:33696
	global_load_b128 v[19:22], v[23:24], off offset:3680
	s_waitcnt lgkmcnt(0)
	v_add_f64 v[23:24], v[0:1], v[6:7]
	v_add_f64 v[25:26], v[8:9], v[2:3]
	v_add_f64 v[27:28], v[0:1], -v[6:7]
	v_add_f64 v[0:1], v[2:3], -v[8:9]
	s_waitcnt vmcnt(2)
	s_delay_alu instid0(VALU_DEP_2) | instskip(NEXT) | instid1(VALU_DEP_2)
	v_fma_f64 v[2:3], v[27:28], v[17:18], v[23:24]
	v_fma_f64 v[6:7], v[25:26], v[17:18], v[0:1]
	v_fma_f64 v[8:9], -v[27:28], v[17:18], v[23:24]
	v_fma_f64 v[17:18], v[25:26], v[17:18], -v[0:1]
	v_add_co_u32 v23, s0, 0x2000, v4
	s_delay_alu instid0(VALU_DEP_1)
	v_add_co_ci_u32_e64 v24, s0, 0, v5, s0
	v_fma_f64 v[0:1], -v[25:26], v[15:16], v[2:3]
	v_fma_f64 v[2:3], v[27:28], v[15:16], v[6:7]
	v_fma_f64 v[6:7], v[25:26], v[15:16], v[8:9]
	;; [unrolled: 1-line block ×3, first 2 shown]
	ds_store_b128 v114, v[0:3] offset:5184
	ds_store_b128 v10, v[6:9] offset:33696
	ds_load_b128 v[0:3], v114 offset:6480
	ds_load_b128 v[6:9], v10 offset:32400
	global_load_b128 v[15:18], v[23:24], off offset:880
	s_waitcnt lgkmcnt(0)
	v_add_f64 v[25:26], v[0:1], v[6:7]
	v_add_f64 v[27:28], v[8:9], v[2:3]
	v_add_f64 v[29:30], v[0:1], -v[6:7]
	v_add_f64 v[0:1], v[2:3], -v[8:9]
	s_waitcnt vmcnt(2)
	s_delay_alu instid0(VALU_DEP_2) | instskip(NEXT) | instid1(VALU_DEP_2)
	v_fma_f64 v[2:3], v[29:30], v[13:14], v[25:26]
	v_fma_f64 v[6:7], v[27:28], v[13:14], v[0:1]
	v_fma_f64 v[8:9], -v[29:30], v[13:14], v[25:26]
	v_fma_f64 v[13:14], v[27:28], v[13:14], -v[0:1]
	s_delay_alu instid0(VALU_DEP_4) | instskip(NEXT) | instid1(VALU_DEP_4)
	v_fma_f64 v[0:1], -v[27:28], v[11:12], v[2:3]
	v_fma_f64 v[2:3], v[29:30], v[11:12], v[6:7]
	s_delay_alu instid0(VALU_DEP_4) | instskip(NEXT) | instid1(VALU_DEP_4)
	v_fma_f64 v[6:7], v[27:28], v[11:12], v[8:9]
	v_fma_f64 v[8:9], v[29:30], v[11:12], v[13:14]
	ds_store_b128 v114, v[0:3] offset:6480
	ds_store_b128 v10, v[6:9] offset:32400
	ds_load_b128 v[0:3], v114 offset:7776
	ds_load_b128 v[6:9], v10 offset:31104
	global_load_b128 v[11:14], v[23:24], off offset:2176
	s_waitcnt lgkmcnt(0)
	v_add_f64 v[25:26], v[0:1], v[6:7]
	v_add_f64 v[27:28], v[8:9], v[2:3]
	v_add_f64 v[29:30], v[0:1], -v[6:7]
	v_add_f64 v[0:1], v[2:3], -v[8:9]
	s_waitcnt vmcnt(2)
	s_delay_alu instid0(VALU_DEP_2) | instskip(NEXT) | instid1(VALU_DEP_2)
	v_fma_f64 v[2:3], v[29:30], v[21:22], v[25:26]
	v_fma_f64 v[6:7], v[27:28], v[21:22], v[0:1]
	v_fma_f64 v[8:9], -v[29:30], v[21:22], v[25:26]
	v_fma_f64 v[21:22], v[27:28], v[21:22], -v[0:1]
	s_delay_alu instid0(VALU_DEP_4) | instskip(NEXT) | instid1(VALU_DEP_4)
	v_fma_f64 v[0:1], -v[27:28], v[19:20], v[2:3]
	v_fma_f64 v[2:3], v[29:30], v[19:20], v[6:7]
	s_delay_alu instid0(VALU_DEP_4) | instskip(NEXT) | instid1(VALU_DEP_4)
	v_fma_f64 v[6:7], v[27:28], v[19:20], v[8:9]
	v_fma_f64 v[8:9], v[29:30], v[19:20], v[21:22]
	ds_store_b128 v114, v[0:3] offset:7776
	ds_store_b128 v10, v[6:9] offset:31104
	ds_load_b128 v[0:3], v114 offset:9072
	ds_load_b128 v[6:9], v10 offset:29808
	global_load_b128 v[19:22], v[23:24], off offset:3472
	s_waitcnt lgkmcnt(0)
	v_add_f64 v[23:24], v[0:1], v[6:7]
	v_add_f64 v[25:26], v[8:9], v[2:3]
	v_add_f64 v[27:28], v[0:1], -v[6:7]
	v_add_f64 v[0:1], v[2:3], -v[8:9]
	s_waitcnt vmcnt(2)
	s_delay_alu instid0(VALU_DEP_2) | instskip(NEXT) | instid1(VALU_DEP_2)
	v_fma_f64 v[2:3], v[27:28], v[17:18], v[23:24]
	v_fma_f64 v[6:7], v[25:26], v[17:18], v[0:1]
	v_fma_f64 v[8:9], -v[27:28], v[17:18], v[23:24]
	v_fma_f64 v[17:18], v[25:26], v[17:18], -v[0:1]
	v_add_co_u32 v23, s0, 0x3000, v4
	s_delay_alu instid0(VALU_DEP_1)
	v_add_co_ci_u32_e64 v24, s0, 0, v5, s0
	v_fma_f64 v[0:1], -v[25:26], v[15:16], v[2:3]
	v_fma_f64 v[2:3], v[27:28], v[15:16], v[6:7]
	v_fma_f64 v[6:7], v[25:26], v[15:16], v[8:9]
	;; [unrolled: 1-line block ×3, first 2 shown]
	ds_store_b128 v114, v[0:3] offset:9072
	ds_store_b128 v10, v[6:9] offset:29808
	ds_load_b128 v[0:3], v114 offset:10368
	ds_load_b128 v[6:9], v10 offset:28512
	global_load_b128 v[15:18], v[23:24], off offset:672
	s_waitcnt lgkmcnt(0)
	v_add_f64 v[25:26], v[0:1], v[6:7]
	v_add_f64 v[27:28], v[8:9], v[2:3]
	v_add_f64 v[29:30], v[0:1], -v[6:7]
	v_add_f64 v[0:1], v[2:3], -v[8:9]
	s_waitcnt vmcnt(2)
	s_delay_alu instid0(VALU_DEP_2) | instskip(NEXT) | instid1(VALU_DEP_2)
	v_fma_f64 v[2:3], v[29:30], v[13:14], v[25:26]
	v_fma_f64 v[6:7], v[27:28], v[13:14], v[0:1]
	v_fma_f64 v[8:9], -v[29:30], v[13:14], v[25:26]
	v_fma_f64 v[13:14], v[27:28], v[13:14], -v[0:1]
	s_delay_alu instid0(VALU_DEP_4) | instskip(NEXT) | instid1(VALU_DEP_4)
	v_fma_f64 v[0:1], -v[27:28], v[11:12], v[2:3]
	v_fma_f64 v[2:3], v[29:30], v[11:12], v[6:7]
	s_delay_alu instid0(VALU_DEP_4) | instskip(NEXT) | instid1(VALU_DEP_4)
	v_fma_f64 v[6:7], v[27:28], v[11:12], v[8:9]
	v_fma_f64 v[8:9], v[29:30], v[11:12], v[13:14]
	ds_store_b128 v114, v[0:3] offset:10368
	ds_store_b128 v10, v[6:9] offset:28512
	ds_load_b128 v[0:3], v114 offset:11664
	ds_load_b128 v[6:9], v10 offset:27216
	global_load_b128 v[11:14], v[23:24], off offset:1968
	s_waitcnt lgkmcnt(0)
	v_add_f64 v[25:26], v[0:1], v[6:7]
	v_add_f64 v[27:28], v[8:9], v[2:3]
	v_add_f64 v[29:30], v[0:1], -v[6:7]
	v_add_f64 v[0:1], v[2:3], -v[8:9]
	s_waitcnt vmcnt(2)
	s_delay_alu instid0(VALU_DEP_2) | instskip(NEXT) | instid1(VALU_DEP_2)
	v_fma_f64 v[2:3], v[29:30], v[21:22], v[25:26]
	v_fma_f64 v[6:7], v[27:28], v[21:22], v[0:1]
	v_fma_f64 v[8:9], -v[29:30], v[21:22], v[25:26]
	v_fma_f64 v[21:22], v[27:28], v[21:22], -v[0:1]
	s_delay_alu instid0(VALU_DEP_4) | instskip(NEXT) | instid1(VALU_DEP_4)
	v_fma_f64 v[0:1], -v[27:28], v[19:20], v[2:3]
	v_fma_f64 v[2:3], v[29:30], v[19:20], v[6:7]
	s_delay_alu instid0(VALU_DEP_4) | instskip(NEXT) | instid1(VALU_DEP_4)
	v_fma_f64 v[6:7], v[27:28], v[19:20], v[8:9]
	v_fma_f64 v[8:9], v[29:30], v[19:20], v[21:22]
	ds_store_b128 v114, v[0:3] offset:11664
	ds_store_b128 v10, v[6:9] offset:27216
	ds_load_b128 v[0:3], v114 offset:12960
	ds_load_b128 v[6:9], v10 offset:25920
	global_load_b128 v[19:22], v[23:24], off offset:3264
	s_waitcnt lgkmcnt(0)
	v_add_f64 v[23:24], v[0:1], v[6:7]
	v_add_f64 v[25:26], v[8:9], v[2:3]
	v_add_f64 v[27:28], v[0:1], -v[6:7]
	v_add_f64 v[0:1], v[2:3], -v[8:9]
	s_waitcnt vmcnt(2)
	s_delay_alu instid0(VALU_DEP_2) | instskip(NEXT) | instid1(VALU_DEP_2)
	v_fma_f64 v[2:3], v[27:28], v[17:18], v[23:24]
	v_fma_f64 v[6:7], v[25:26], v[17:18], v[0:1]
	v_fma_f64 v[8:9], -v[27:28], v[17:18], v[23:24]
	v_fma_f64 v[17:18], v[25:26], v[17:18], -v[0:1]
	v_add_co_u32 v23, s0, 0x4000, v4
	s_delay_alu instid0(VALU_DEP_1)
	v_add_co_ci_u32_e64 v24, s0, 0, v5, s0
	s_mov_b32 s0, 0x4755a5e
	s_mov_b32 s1, 0x3fe2cf23
	;; [unrolled: 1-line block ×3, first 2 shown]
	v_fma_f64 v[0:1], -v[25:26], v[15:16], v[2:3]
	v_fma_f64 v[2:3], v[27:28], v[15:16], v[6:7]
	v_fma_f64 v[6:7], v[25:26], v[15:16], v[8:9]
	;; [unrolled: 1-line block ×3, first 2 shown]
	ds_store_b128 v114, v[0:3] offset:12960
	ds_store_b128 v10, v[6:9] offset:25920
	ds_load_b128 v[0:3], v114 offset:14256
	ds_load_b128 v[6:9], v10 offset:24624
	global_load_b128 v[15:18], v[23:24], off offset:464
	s_waitcnt lgkmcnt(0)
	v_add_f64 v[4:5], v[0:1], v[6:7]
	v_add_f64 v[25:26], v[8:9], v[2:3]
	v_add_f64 v[6:7], v[0:1], -v[6:7]
	v_add_f64 v[0:1], v[2:3], -v[8:9]
	s_waitcnt vmcnt(2)
	s_delay_alu instid0(VALU_DEP_2) | instskip(NEXT) | instid1(VALU_DEP_2)
	v_fma_f64 v[2:3], v[6:7], v[13:14], v[4:5]
	v_fma_f64 v[8:9], v[25:26], v[13:14], v[0:1]
	v_fma_f64 v[4:5], -v[6:7], v[13:14], v[4:5]
	v_fma_f64 v[13:14], v[25:26], v[13:14], -v[0:1]
	s_delay_alu instid0(VALU_DEP_4) | instskip(NEXT) | instid1(VALU_DEP_4)
	v_fma_f64 v[0:1], -v[25:26], v[11:12], v[2:3]
	v_fma_f64 v[2:3], v[6:7], v[11:12], v[8:9]
	s_delay_alu instid0(VALU_DEP_4) | instskip(NEXT) | instid1(VALU_DEP_4)
	v_fma_f64 v[4:5], v[25:26], v[11:12], v[4:5]
	v_fma_f64 v[6:7], v[6:7], v[11:12], v[13:14]
	ds_store_b128 v114, v[0:3] offset:14256
	ds_store_b128 v10, v[4:7] offset:24624
	ds_load_b128 v[0:3], v114 offset:15552
	ds_load_b128 v[4:7], v10 offset:23328
	global_load_b128 v[11:14], v[23:24], off offset:1760
	s_waitcnt lgkmcnt(0)
	v_add_f64 v[8:9], v[0:1], v[4:5]
	v_add_f64 v[23:24], v[6:7], v[2:3]
	v_add_f64 v[25:26], v[0:1], -v[4:5]
	v_add_f64 v[0:1], v[2:3], -v[6:7]
	s_waitcnt vmcnt(2)
	s_delay_alu instid0(VALU_DEP_2) | instskip(NEXT) | instid1(VALU_DEP_2)
	v_fma_f64 v[2:3], v[25:26], v[21:22], v[8:9]
	v_fma_f64 v[4:5], v[23:24], v[21:22], v[0:1]
	v_fma_f64 v[6:7], -v[25:26], v[21:22], v[8:9]
	v_fma_f64 v[8:9], v[23:24], v[21:22], -v[0:1]
	s_delay_alu instid0(VALU_DEP_4) | instskip(NEXT) | instid1(VALU_DEP_4)
	v_fma_f64 v[0:1], -v[23:24], v[19:20], v[2:3]
	v_fma_f64 v[2:3], v[25:26], v[19:20], v[4:5]
	s_delay_alu instid0(VALU_DEP_4) | instskip(NEXT) | instid1(VALU_DEP_4)
	v_fma_f64 v[4:5], v[23:24], v[19:20], v[6:7]
	v_fma_f64 v[6:7], v[25:26], v[19:20], v[8:9]
	ds_store_b128 v114, v[0:3] offset:15552
	ds_store_b128 v10, v[4:7] offset:23328
	ds_load_b128 v[0:3], v114 offset:16848
	ds_load_b128 v[4:7], v10 offset:22032
	s_waitcnt lgkmcnt(0)
	v_add_f64 v[8:9], v[0:1], v[4:5]
	v_add_f64 v[19:20], v[6:7], v[2:3]
	v_add_f64 v[21:22], v[0:1], -v[4:5]
	v_add_f64 v[0:1], v[2:3], -v[6:7]
	s_waitcnt vmcnt(1)
	s_delay_alu instid0(VALU_DEP_2) | instskip(NEXT) | instid1(VALU_DEP_2)
	v_fma_f64 v[2:3], v[21:22], v[17:18], v[8:9]
	v_fma_f64 v[4:5], v[19:20], v[17:18], v[0:1]
	v_fma_f64 v[6:7], -v[21:22], v[17:18], v[8:9]
	v_fma_f64 v[8:9], v[19:20], v[17:18], -v[0:1]
	s_delay_alu instid0(VALU_DEP_4) | instskip(NEXT) | instid1(VALU_DEP_4)
	v_fma_f64 v[0:1], -v[19:20], v[15:16], v[2:3]
	v_fma_f64 v[2:3], v[21:22], v[15:16], v[4:5]
	s_delay_alu instid0(VALU_DEP_4) | instskip(NEXT) | instid1(VALU_DEP_4)
	v_fma_f64 v[4:5], v[19:20], v[15:16], v[6:7]
	v_fma_f64 v[6:7], v[21:22], v[15:16], v[8:9]
	ds_store_b128 v114, v[0:3] offset:16848
	ds_store_b128 v10, v[4:7] offset:22032
	ds_load_b128 v[0:3], v114 offset:18144
	ds_load_b128 v[4:7], v10 offset:20736
	s_waitcnt lgkmcnt(0)
	v_add_f64 v[8:9], v[0:1], v[4:5]
	v_add_f64 v[15:16], v[6:7], v[2:3]
	v_add_f64 v[17:18], v[0:1], -v[4:5]
	v_add_f64 v[0:1], v[2:3], -v[6:7]
	s_waitcnt vmcnt(0)
	s_delay_alu instid0(VALU_DEP_2) | instskip(NEXT) | instid1(VALU_DEP_2)
	v_fma_f64 v[2:3], v[17:18], v[13:14], v[8:9]
	v_fma_f64 v[4:5], v[15:16], v[13:14], v[0:1]
	v_fma_f64 v[6:7], -v[17:18], v[13:14], v[8:9]
	v_fma_f64 v[8:9], v[15:16], v[13:14], -v[0:1]
	s_delay_alu instid0(VALU_DEP_4) | instskip(NEXT) | instid1(VALU_DEP_4)
	v_fma_f64 v[0:1], -v[15:16], v[11:12], v[2:3]
	v_fma_f64 v[2:3], v[17:18], v[11:12], v[4:5]
	s_delay_alu instid0(VALU_DEP_4) | instskip(NEXT) | instid1(VALU_DEP_4)
	v_fma_f64 v[4:5], v[15:16], v[11:12], v[6:7]
	v_fma_f64 v[6:7], v[17:18], v[11:12], v[8:9]
	v_mul_u32_u24_e32 v8, 10, v81
	scratch_store_b32 off, v8, off offset:20 ; 4-byte Folded Spill
	v_add_nc_u32_e32 v8, 0x51, v81
	scratch_store_b32 off, v8, off offset:104 ; 4-byte Folded Spill
	v_add_nc_u32_e32 v8, 0xa2, v81
	;; [unrolled: 2-line block ×5, first 2 shown]
	s_clause 0x1
	scratch_store_b32 off, v43, off offset:100
	scratch_store_b32 off, v8, off offset:16
	ds_store_b128 v114, v[0:3] offset:18144
	ds_store_b128 v10, v[4:7] offset:20736
	s_waitcnt lgkmcnt(0)
	s_waitcnt_vscnt null, 0x0
	s_barrier
	buffer_gl0_inv
	s_barrier
	buffer_gl0_inv
	ds_load_b128 v[61:64], v114
	ds_load_b128 v[76:79], v114 offset:1296
	ds_load_b128 v[46:49], v114 offset:7776
	;; [unrolled: 1-line block ×29, first 2 shown]
	s_waitcnt lgkmcnt(27)
	v_add_f64 v[73:74], v[61:62], v[46:47]
	s_waitcnt lgkmcnt(23)
	v_add_f64 v[174:175], v[71:72], v[100:101]
	;; [unrolled: 2-line block ×3, first 2 shown]
	v_add_f64 v[160:161], v[92:93], v[96:97]
	v_add_f64 v[40:41], v[69:70], -v[98:99]
	v_add_f64 v[182:183], v[48:49], v[14:15]
	s_waitcnt lgkmcnt(15)
	v_add_f64 v[188:189], v[94:95], -v[121:122]
	v_add_f64 v[190:191], v[121:122], -v[94:95]
	;; [unrolled: 1-line block ×4, first 2 shown]
	s_waitcnt lgkmcnt(11)
	v_add_f64 v[56:57], v[96:97], -v[22:23]
	v_add_f64 v[198:199], v[94:95], v[20:21]
	v_add_f64 v[58:59], v[94:95], -v[20:21]
	v_add_f64 v[94:95], v[96:97], v[22:23]
	v_add_f64 v[96:97], v[76:77], v[65:66]
	;; [unrolled: 1-line block ×4, first 2 shown]
	s_waitcnt lgkmcnt(7)
	v_add_f64 v[224:225], v[134:135], v[142:143]
	v_add_f64 v[110:111], v[63:64], v[48:49]
	v_add_f64 v[44:45], v[48:49], -v[14:15]
	v_add_f64 v[176:177], v[48:49], -v[71:72]
	;; [unrolled: 1-line block ×3, first 2 shown]
	v_add_f64 v[186:187], v[121:122], v[130:131]
	v_add_f64 v[48:49], v[121:122], -v[130:131]
	v_add_f64 v[202:203], v[78:79], v[67:68]
	v_add_f64 v[226:227], v[136:137], v[144:145]
	v_add_f64 v[170:171], v[69:70], -v[46:47]
	v_add_f64 v[172:173], v[98:99], -v[12:13]
	;; [unrolled: 1-line block ×3, first 2 shown]
	v_add_f64 v[210:211], v[86:87], v[24:25]
	v_add_f64 v[220:221], v[65:66], v[0:1]
	s_waitcnt lgkmcnt(3)
	v_add_f64 v[228:229], v[150:151], v[36:37]
	s_waitcnt lgkmcnt(1)
	v_add_f64 v[232:233], v[142:143], v[16:17]
	v_add_f64 v[80:81], v[71:72], -v[100:101]
	v_add_f64 v[184:185], v[100:101], -v[14:15]
	v_add_f64 v[192:193], v[123:124], v[132:133]
	v_add_f64 v[200:201], v[20:21], -v[130:131]
	v_add_f64 v[208:209], v[132:133], -v[22:23]
	v_add_f64 v[212:213], v[65:66], -v[86:87]
	v_fma_f64 v[174:175], v[174:175], -0.5, v[63:64]
	v_add_f64 v[121:122], v[158:159], v[121:122]
	v_add_f64 v[214:215], v[86:87], -v[65:66]
	v_add_f64 v[54:55], v[86:87], -v[24:25]
	v_fma_f64 v[182:183], v[182:183], -0.5, v[63:64]
	v_add_f64 v[230:231], v[152:153], v[38:39]
	v_add_f64 v[234:235], v[144:145], v[18:19]
	;; [unrolled: 1-line block ×7, first 2 shown]
	s_waitcnt lgkmcnt(0)
	v_add_f64 v[250:251], v[146:147], v[8:9]
	v_add_f64 v[63:64], v[96:97], v[86:87]
	scratch_store_b64 off, v[40:41], off offset:108 ; 8-byte Folded Spill
	v_add_f64 v[40:41], v[73:74], v[69:70]
	v_fma_f64 v[216:217], v[216:217], -0.5, v[78:79]
	v_fma_f64 v[222:223], v[222:223], -0.5, v[78:79]
	v_add_f64 v[78:79], v[224:225], v[150:151]
	v_add_f64 v[72:73], v[110:111], v[71:72]
	v_add_f64 v[158:159], v[24:25], -v[0:1]
	v_add_f64 v[86:87], v[138:139], v[146:147]
	v_add_f64 v[162:163], v[69:70], v[98:99]
	v_add_f64 v[166:167], v[12:13], -v[98:99]
	v_add_f64 v[240:241], v[125:126], v[28:29]
	v_fma_f64 v[186:187], v[186:187], -0.5, v[90:91]
	v_fma_f64 v[198:199], v[198:199], -0.5, v[90:91]
	;; [unrolled: 1-line block ×5, first 2 shown]
	v_add_f64 v[76:77], v[144:145], -v[152:153]
	v_fma_f64 v[228:229], v[228:229], -0.5, v[134:135]
	v_fma_f64 v[232:233], v[232:233], -0.5, v[134:135]
	v_add_f64 v[134:135], v[18:19], -v[38:39]
	v_fma_f64 v[192:193], v[192:193], -0.5, v[92:93]
	v_add_f64 v[82:83], v[150:151], -v[142:143]
	v_add_f64 v[90:91], v[150:151], -v[36:37]
	v_add_f64 v[115:116], v[106:107], -v[125:126]
	v_add_f64 v[92:93], v[125:126], -v[28:29]
	v_add_f64 v[119:120], v[108:109], -v[127:128]
	v_add_f64 v[117:118], v[146:147], -v[154:155]
	v_add_f64 v[168:169], v[46:47], v[12:13]
	v_add_f64 v[164:165], v[46:47], -v[69:70]
	v_fma_f64 v[230:231], v[230:231], -0.5, v[136:137]
	v_fma_f64 v[234:235], v[234:235], -0.5, v[136:137]
	v_add_f64 v[236:237], v[236:237], v[125:126]
	v_add_f64 v[238:239], v[238:239], v[127:128]
	v_fma_f64 v[242:243], v[242:243], -0.5, v[104:105]
	v_fma_f64 v[246:247], v[246:247], -0.5, v[104:105]
	;; [unrolled: 1-line block ×4, first 2 shown]
	scratch_store_b64 off, v[63:64], off offset:116 ; 8-byte Folded Spill
	v_add_f64 v[63:64], v[202:203], v[88:89]
	v_add_f64 v[202:203], v[125:126], -v[106:107]
	v_add_f64 v[104:105], v[108:109], -v[6:7]
	;; [unrolled: 1-line block ×3, first 2 shown]
	scratch_store_b64 off, v[78:79], off offset:132 ; 8-byte Folded Spill
	v_add_f64 v[78:79], v[226:227], v[152:153]
	v_add_f64 v[226:227], v[40:41], v[98:99]
	;; [unrolled: 1-line block ×3, first 2 shown]
	v_add_f64 v[121:122], v[148:149], -v[156:157]
	v_add_f64 v[224:225], v[72:73], v[100:101]
	scratch_load_b32 v136, off, off offset:52 ; 4-byte Folded Reload
	v_add_f64 v[72:73], v[214:215], v[158:159]
	v_add_f64 v[180:181], v[14:15], -v[100:101]
	v_add_f64 v[52:53], v[123:124], -v[132:133]
	;; [unrolled: 1-line block ×4, first 2 shown]
	v_add_f64 v[252:253], v[156:157], v[34:35]
	v_add_f64 v[254:255], v[148:149], v[10:11]
	v_add_f64 v[110:111], v[88:89], -v[67:68]
	v_add_f64 v[98:99], v[76:77], v[134:135]
	v_add_f64 v[123:124], v[160:161], v[123:124]
	;; [unrolled: 1-line block ×3, first 2 shown]
	v_add_f64 v[206:207], v[22:23], -v[132:133]
	v_fma_f64 v[162:163], v[162:163], -0.5, v[61:62]
	v_add_f64 v[74:75], v[152:153], -v[38:39]
	v_add_f64 v[152:153], v[152:153], -v[144:145]
	;; [unrolled: 1-line block ×3, first 2 shown]
	v_fma_f64 v[168:169], v[168:169], -0.5, v[61:62]
	v_add_f64 v[61:62], v[26:27], -v[2:3]
	v_add_f64 v[68:69], v[67:68], -v[2:3]
	v_mul_lo_u16 v67, 0xcd, v43
	v_add_f64 v[94:95], v[144:145], -v[18:19]
	v_add_f64 v[145:146], v[146:147], -v[8:9]
	v_dual_mov_b32 v135, v60 :: v_dual_and_b32 v130, 0xffff, v84
	v_add_f64 v[70:71], v[65:66], -v[0:1]
	v_add_f64 v[65:66], v[0:1], -v[24:25]
	;; [unrolled: 1-line block ×3, first 2 shown]
	scratch_store_b64 off, v[63:64], off offset:124 ; 8-byte Folded Spill
	v_add_f64 v[63:64], v[142:143], -v[150:151]
	v_add_f64 v[150:151], v[127:128], -v[30:31]
	;; [unrolled: 1-line block ×4, first 2 shown]
	scratch_store_b64 off, v[78:79], off offset:140 ; 8-byte Folded Spill
	v_add_f64 v[78:79], v[170:171], v[172:173]
	scratch_store_b64 off, v[40:41], off offset:148 ; 8-byte Folded Spill
	scratch_load_b32 v40, off, off offset:20 ; 4-byte Folded Reload
	v_add_f64 v[171:172], v[190:191], v[204:205]
	v_add_f64 v[190:191], v[10:11], -v[34:35]
	scratch_load_b32 v170, off, off offset:104 ; 4-byte Folded Reload
	v_add_f64 v[154:155], v[86:87], v[154:155]
	v_add_f64 v[86:87], v[178:179], v[184:185]
	;; [unrolled: 1-line block ×3, first 2 shown]
	v_mov_b32_e32 v204, v129
	v_and_b32_e32 v134, 0xffff, v85
	v_mov_b32_e32 v208, v85
	s_clause 0x1
	scratch_load_b32 v85, off, off offset:32
	scratch_load_b32 v197, off, off offset:16
	v_fma_f64 v[252:253], v[252:253], -0.5, v[140:141]
	v_fma_f64 v[254:255], v[254:255], -0.5, v[140:141]
	v_add_f64 v[123:124], v[123:124], v[132:133]
	v_add_f64 v[132:133], v[88:89], v[156:157]
	v_add_f64 v[88:89], v[36:37], -v[16:17]
	v_add_f64 v[139:140], v[164:165], v[166:167]
	v_add_f64 v[164:165], v[38:39], -v[18:19]
	v_add_f64 v[141:142], v[176:177], v[180:181]
	v_add_f64 v[176:177], v[4:5], -v[28:29]
	v_add_f64 v[100:101], v[194:195], v[206:207]
	v_add_f64 v[76:77], v[110:111], v[61:62]
	v_lshrrev_b16 v111, 11, v67
	v_and_b32_e32 v205, 0xffff, v60
	v_and_b32_e32 v137, 0xffff, v129
	v_add_f64 v[143:144], v[16:17], -v[36:37]
	v_add_f64 v[244:245], v[106:107], v[4:5]
	v_add_f64 v[178:179], v[28:29], -v[4:5]
	v_add_f64 v[46:47], v[46:47], -v[12:13]
	v_fma_f64 v[240:241], v[240:241], -0.5, v[102:103]
	v_add_f64 v[166:167], v[212:213], v[65:66]
	v_add_f64 v[194:195], v[30:31], -v[6:7]
	v_add_f64 v[65:66], v[218:219], v[160:161]
	v_add_f64 v[160:161], v[32:33], -v[8:9]
	v_add_f64 v[180:181], v[6:7], -v[30:31]
	v_add_f64 v[28:29], v[236:237], v[28:29]
	v_add_f64 v[30:31], v[238:239], v[30:31]
	v_fma_f64 v[214:215], v[90:91], s[4:5], v[234:235]
	v_fma_f64 v[218:219], v[74:75], s[12:13], v[232:233]
	v_add_f64 v[158:159], v[121:122], v[190:191]
	scratch_load_b64 v[121:122], off, off offset:148 ; 8-byte Folded Reload
	v_fma_f64 v[190:191], v[52:53], s[4:5], v[198:199]
	v_add_f64 v[12:13], v[226:227], v[12:13]
	v_add_f64 v[14:15], v[224:225], v[14:15]
	v_fma_f64 v[224:225], v[74:75], s[4:5], v[232:233]
	v_fma_f64 v[226:227], v[90:91], s[12:13], v[234:235]
	;; [unrolled: 1-line block ×7, first 2 shown]
	v_add_f64 v[22:23], v[123:124], v[22:23]
	v_fma_f64 v[123:124], v[54:55], s[4:5], v[222:223]
	v_add_f64 v[60:61], v[82:83], v[88:89]
	v_mul_u32_u24_e32 v83, 0xcccd, v134
	v_add_f64 v[88:89], v[152:153], v[164:165]
	v_fma_f64 v[222:223], v[54:55], s[12:13], v[222:223]
	v_add_f64 v[152:153], v[115:116], v[176:177]
	v_fma_f64 v[176:177], v[48:49], s[4:5], v[112:113]
	v_fma_f64 v[112:113], v[48:49], s[12:13], v[112:113]
	;; [unrolled: 1-line block ×3, first 2 shown]
	v_mul_u32_u24_e32 v129, 0xcccd, v205
	scratch_store_b32 off, v111, off offset:20 ; 4-byte Folded Spill
	v_add_f64 v[63:64], v[63:64], v[143:144]
	v_fma_f64 v[244:245], v[244:245], -0.5, v[102:103]
	v_add_f64 v[102:103], v[106:107], -v[4:5]
	v_add_f64 v[106:107], v[156:157], -v[34:35]
	;; [unrolled: 1-line block ×5, first 2 shown]
	v_add_f64 v[34:35], v[132:133], v[34:35]
	v_fma_f64 v[132:133], v[56:57], s[4:5], v[186:187]
	v_add_f64 v[164:165], v[202:203], v[178:179]
	v_fma_f64 v[178:179], v[52:53], s[12:13], v[198:199]
	v_fma_f64 v[186:187], v[56:57], s[12:13], v[186:187]
	v_add_f64 v[127:128], v[127:128], v[194:195]
	v_add_f64 v[125:126], v[125:126], v[160:161]
	v_fma_f64 v[160:161], v[46:47], s[12:13], v[174:175]
	v_fma_f64 v[194:195], v[94:95], s[4:5], v[228:229]
	v_add_f64 v[119:120], v[119:120], v[180:181]
	v_fma_f64 v[180:181], v[80:81], s[12:13], v[168:169]
	v_fma_f64 v[168:169], v[80:81], s[4:5], v[168:169]
	v_fma_f64 v[198:199], v[96:97], s[12:13], v[230:231]
	v_fma_f64 v[228:229], v[94:95], s[12:13], v[228:229]
	v_fma_f64 v[230:231], v[96:97], s[4:5], v[230:231]
	v_add_f64 v[28:29], v[28:29], v[4:5]
	v_add_f64 v[30:31], v[30:31], v[6:7]
	v_fma_f64 v[4:5], v[108:109], s[4:5], v[254:255]
	v_fma_f64 v[173:174], v[46:47], s[4:5], v[174:175]
	;; [unrolled: 1-line block ×5, first 2 shown]
	s_clause 0x1
	scratch_store_b32 off, v204, off offset:56
	scratch_store_b32 off, v205, off offset:76
	v_fma_f64 v[175:176], v[58:59], s[10:11], v[176:177]
	v_fma_f64 v[6:7], v[106:107], s[12:13], v[250:251]
	v_add_f64 v[143:144], v[156:157], v[143:144]
	v_fma_f64 v[156:157], v[44:45], s[4:5], v[162:163]
	v_fma_f64 v[162:163], v[44:45], s[12:13], v[162:163]
	v_add_f64 v[34:35], v[34:35], v[10:11]
	v_fma_f64 v[10:11], v[106:107], s[4:5], v[250:251]
	v_fma_f64 v[234:235], v[148:149], s[12:13], v[248:249]
	;; [unrolled: 1-line block ×15, first 2 shown]
	s_waitcnt vmcnt(4)
	v_lshl_add_u32 v138, v40, 4, 0
	v_add_f64 v[40:41], v[188:189], v[200:201]
	scratch_load_b32 v200, off, off offset:28 ; 4-byte Folded Reload
	v_add_f64 v[188:189], v[8:9], -v[32:33]
	s_waitcnt vmcnt(4)
	v_and_b32_e32 v207, 0xff, v170
	v_dual_mov_b32 v201, v84 :: v_dual_and_b32 v206, 0xff, v136
	v_add_f64 v[32:33], v[154:155], v[32:33]
	v_fma_f64 v[154:155], v[58:59], s[12:13], v[192:193]
	s_delay_alu instid0(VALU_DEP_4)
	v_mul_lo_u16 v62, 0xcd, v207
	s_waitcnt vmcnt(3)
	v_and_b32_e32 v110, 0xffff, v85
	s_clause 0x1
	scratch_store_b32 off, v201, off offset:36
	scratch_store_b32 off, v135, off offset:48
	s_waitcnt vmcnt(2)
	v_and_b32_e32 v131, 0xffff, v197
	scratch_store_b64 off, v[42:43], off offset:60 ; 8-byte Folded Spill
	v_lshrrev_b16 v43, 11, v62
	scratch_store_b32 off, v206, off offset:80 ; 4-byte Folded Spill
	v_fma_f64 v[192:193], v[58:59], s[4:5], v[192:193]
	v_fma_f64 v[58:59], v[58:59], s[0:1], v[112:113]
	;; [unrolled: 1-line block ×3, first 2 shown]
	s_clause 0x2
	scratch_store_b32 off, v43, off offset:84
	scratch_store_b32 off, v134, off offset:92
	;; [unrolled: 1-line block ×3, first 2 shown]
	v_fma_f64 v[80:81], v[80:81], s[10:11], v[162:163]
	v_fma_f64 v[162:163], v[90:91], s[10:11], v[198:199]
	;; [unrolled: 1-line block ×4, first 2 shown]
	v_mul_u32_u24_e32 v84, 0xcccd, v130
	v_add_f64 v[6:7], v[14:15], -v[22:23]
	v_mul_lo_u16 v67, 0xcd, v206
	s_clause 0x1
	scratch_store_b32 off, v137, off offset:44
	scratch_store_b32 off, v110, off offset:40
	v_mul_u32_u24_e32 v134, 0xcccd, v110
	v_mul_u32_u24_e32 v137, 0xcccd, v137
	v_lshrrev_b16 v110, 11, v67
	v_mul_u32_u24_e32 v130, 0xcccd, v131
	scratch_store_b32 off, v131, off offset:72 ; 4-byte Folded Spill
	v_fma_f64 v[132:133], v[40:41], s[14:15], v[132:133]
	v_fma_f64 v[40:41], v[40:41], s[14:15], v[52:53]
	v_add_f64 v[116:117], v[117:118], v[188:189]
	v_mul_lo_u16 v118, v111, 10
	s_waitcnt vmcnt(1)
	v_add_f64 v[20:21], v[121:122], v[20:21]
	v_fma_f64 v[121:122], v[50:51], s[12:13], v[220:221]
	v_add_f64 v[32:33], v[32:33], v[8:9]
	v_fma_f64 v[154:155], v[48:49], s[10:11], v[154:155]
	v_sub_nc_u16 v62, v42, v118
	v_fma_f64 v[8:9], v[150:151], s[12:13], v[244:245]
	v_fma_f64 v[220:221], v[50:51], s[4:5], v[220:221]
	v_lshrrev_b32_e32 v111, 19, v84
	v_fma_f64 v[244:245], v[150:151], s[4:5], v[244:245]
	v_and_b32_e32 v84, 0xff, v62
	v_fma_f64 v[48:49], v[48:49], s[0:1], v[192:193]
	v_fma_f64 v[58:59], v[184:185], s[14:15], v[58:59]
	;; [unrolled: 1-line block ×7, first 2 shown]
	s_delay_alu instid0(VALU_DEP_4) | instskip(SKIP_2) | instid1(VALU_DEP_1)
	v_fma_f64 v[121:122], v[72:73], s[14:15], v[121:122]
	s_waitcnt vmcnt(0)
	v_and_b32_e32 v147, 0xffff, v200
	v_mul_u32_u24_e32 v82, 0xcccd, v147
	scratch_store_b32 off, v147, off offset:96 ; 4-byte Folded Spill
	v_lshrrev_b32_e32 v115, 19, v82
	v_lshrrev_b32_e32 v82, 19, v83
	v_mul_lo_u16 v83, v43, 10
	scratch_load_b64 v[42:43], off, off offset:116 ; 8-byte Folded Reload
	s_waitcnt vmcnt(0)
	v_add_f64 v[24:25], v[42:43], v[24:25]
	scratch_load_b64 v[42:43], off, off offset:124 ; 8-byte Folded Reload
	v_add_f64 v[24:25], v[24:25], v[0:1]
	v_fma_f64 v[0:1], v[148:149], s[4:5], v[248:249]
	v_fma_f64 v[147:148], v[148:149], s[10:11], v[10:11]
	s_delay_alu instid0(VALU_DEP_2) | instskip(SKIP_2) | instid1(VALU_DEP_2)
	v_fma_f64 v[190:191], v[106:107], s[0:1], v[0:1]
	v_fma_f64 v[106:107], v[106:107], s[10:11], v[234:235]
	v_add_f64 v[0:1], v[12:13], v[20:21]
	v_fma_f64 v[106:107], v[116:117], s[14:15], v[106:107]
	s_waitcnt vmcnt(0)
	v_add_f64 v[26:27], v[42:43], v[26:27]
	scratch_load_b64 v[42:43], off, off offset:132 ; 8-byte Folded Reload
	v_add_f64 v[26:27], v[26:27], v[2:3]
	v_fma_f64 v[2:3], v[145:146], s[12:13], v[252:253]
	s_delay_alu instid0(VALU_DEP_1) | instskip(SKIP_3) | instid1(VALU_DEP_3)
	v_fma_f64 v[192:193], v[108:109], s[10:11], v[2:3]
	v_fma_f64 v[108:109], v[108:109], s[0:1], v[236:237]
	v_add_f64 v[2:3], v[14:15], v[22:23]
	v_add_f64 v[22:23], v[30:31], -v[34:35]
	v_fma_f64 v[108:109], v[158:159], s[14:15], v[108:109]
	v_fma_f64 v[158:159], v[158:159], s[14:15], v[192:193]
	s_waitcnt vmcnt(0)
	v_add_f64 v[36:37], v[42:43], v[36:37]
	scratch_load_b64 v[42:43], off, off offset:140 ; 8-byte Folded Reload
	v_add_f64 v[16:17], v[36:37], v[16:17]
	v_fma_f64 v[36:37], v[104:105], s[4:5], v[240:241]
	v_fma_f64 v[240:241], v[104:105], s[12:13], v[240:241]
	s_delay_alu instid0(VALU_DEP_2) | instskip(NEXT) | instid1(VALU_DEP_2)
	v_fma_f64 v[36:37], v[150:151], s[0:1], v[36:37]
	v_fma_f64 v[149:150], v[150:151], s[10:11], v[240:241]
	s_waitcnt vmcnt(0)
	v_add_f64 v[38:39], v[42:43], v[38:39]
	scratch_load_b64 v[42:43], off, off offset:108 ; 8-byte Folded Reload
	s_waitcnt vmcnt(0)
	s_waitcnt_vscnt null, 0x0
	s_barrier
	buffer_gl0_inv
	v_add_f64 v[18:19], v[38:39], v[18:19]
	v_fma_f64 v[38:39], v[102:103], s[12:13], v[242:243]
	v_fma_f64 v[242:243], v[102:103], s[4:5], v[242:243]
	s_delay_alu instid0(VALU_DEP_3)
	v_add_f64 v[10:11], v[26:27], v[18:19]
	v_add_f64 v[14:15], v[26:27], -v[18:19]
	v_fma_f64 v[26:27], v[88:89], s[14:15], v[96:97]
	v_fma_f64 v[96:97], v[125:126], s[14:15], v[147:148]
	v_add_f64 v[18:19], v[30:31], v[34:35]
	v_mul_f64 v[30:31], v[177:178], s[12:13]
	v_mul_f64 v[147:148], v[40:41], s[16:17]
	v_fma_f64 v[38:39], v[92:93], s[10:11], v[38:39]
	v_fma_f64 v[92:93], v[92:93], s[0:1], v[242:243]
	v_mul_u32_u24_e32 v243, 0x8889, v131
	v_fma_f64 v[188:189], v[42:43], s[4:5], v[182:183]
	v_fma_f64 v[156:157], v[42:43], s[10:11], v[160:161]
	;; [unrolled: 1-line block ×10, first 2 shown]
	v_add_f64 v[4:5], v[12:13], -v[20:21]
	v_add_f64 v[8:9], v[24:25], v[16:17]
	v_add_f64 v[12:13], v[24:25], -v[16:17]
	v_add_f64 v[16:17], v[28:29], v[32:33]
	v_add_f64 v[20:21], v[28:29], -v[32:33]
	v_mul_f64 v[28:29], v[175:176], s[4:5]
	v_fma_f64 v[32:33], v[139:140], s[14:15], v[112:113]
	v_mul_f64 v[112:113], v[56:57], s[14:15]
	v_fma_f64 v[50:51], v[50:51], s[10:11], v[209:210]
	v_fma_f64 v[209:210], v[102:103], s[10:11], v[238:239]
	;; [unrolled: 1-line block ×5, first 2 shown]
	v_mul_u32_u24_e32 v244, 0x1e0, v111
	v_fma_f64 v[168:169], v[46:47], s[10:11], v[188:189]
	v_fma_f64 v[188:189], v[94:95], s[0:1], v[218:219]
	;; [unrolled: 1-line block ×10, first 2 shown]
	v_mul_f64 v[154:155], v[48:49], s[16:17]
	v_fma_f64 v[34:35], v[141:142], s[14:15], v[156:157]
	v_fma_f64 v[141:142], v[141:142], s[14:15], v[42:43]
	;; [unrolled: 1-line block ×11, first 2 shown]
	v_mul_f64 v[116:117], v[132:133], s[16:17]
	v_mul_f64 v[125:126], v[132:133], s[10:11]
	;; [unrolled: 1-line block ×3, first 2 shown]
	v_fma_f64 v[143:144], v[78:79], s[14:15], v[180:181]
	v_fma_f64 v[78:79], v[98:99], s[14:15], v[162:163]
	v_mul_f64 v[98:99], v[52:53], s[16:17]
	v_mul_f64 v[52:53], v[52:53], s[10:11]
	v_fma_f64 v[46:47], v[86:87], s[14:15], v[46:47]
	v_mul_f64 v[86:87], v[160:161], s[4:5]
	v_mul_f64 v[162:163], v[26:27], s[14:15]
	;; [unrolled: 3-line block ×3, first 2 shown]
	v_mul_f64 v[191:192], v[106:107], s[16:17]
	v_mul_f64 v[193:194], v[108:109], s[16:17]
	v_fma_f64 v[58:59], v[58:59], s[4:5], -v[112:113]
	v_fma_f64 v[195:196], v[76:77], s[14:15], v[69:70]
	v_fma_f64 v[112:113], v[166:167], s[14:15], v[50:51]
	;; [unrolled: 1-line block ×5, first 2 shown]
	v_mul_f64 v[139:140], v[171:172], s[12:13]
	v_mul_f64 v[42:43], v[24:25], s[14:15]
	;; [unrolled: 1-line block ×8, first 2 shown]
	v_fma_f64 v[116:117], v[88:89], s[0:1], v[116:117]
	v_fma_f64 v[88:89], v[88:89], s[16:17], v[125:126]
	;; [unrolled: 1-line block ×3, first 2 shown]
	v_fma_f64 v[56:57], v[56:57], s[12:13], -v[132:133]
	v_fma_f64 v[132:133], v[65:66], s[14:15], v[54:55]
	v_fma_f64 v[54:55], v[48:49], s[0:1], -v[147:148]
	v_fma_f64 v[64:65], v[40:41], s[10:11], -v[154:155]
	v_fma_f64 v[177:178], v[72:73], s[14:15], v[67:68]
	v_fma_f64 v[66:67], v[78:79], s[0:1], v[98:99]
	;; [unrolled: 1-line block ×4, first 2 shown]
	v_fma_f64 v[78:79], v[24:25], s[12:13], -v[162:163]
	v_fma_f64 v[147:148], v[152:153], s[14:15], v[36:37]
	v_fma_f64 v[154:155], v[119:120], s[14:15], v[38:39]
	;; [unrolled: 1-line block ×3, first 2 shown]
	v_fma_f64 v[162:163], v[96:97], s[12:13], -v[189:190]
	v_fma_f64 v[118:119], v[119:120], s[14:15], v[92:93]
	v_fma_f64 v[164:165], v[108:109], s[0:1], -v[191:192]
	v_fma_f64 v[171:172], v[106:107], s[10:11], -v[193:194]
	v_add_f64 v[40:41], v[44:45], v[58:59]
	v_add_f64 v[38:39], v[145:146], -v[175:176]
	v_add_f64 v[44:45], v[44:45], -v[58:59]
	v_fma_f64 v[72:73], v[160:161], s[14:15], v[139:140]
	v_fma_f64 v[76:77], v[26:27], s[4:5], -v[42:43]
	v_fma_f64 v[98:99], v[62:63], s[0:1], -v[173:174]
	;; [unrolled: 1-line block ×3, first 2 shown]
	v_fma_f64 v[104:105], v[158:159], s[0:1], v[181:182]
	v_fma_f64 v[139:140], v[158:159], s[16:17], v[74:75]
	;; [unrolled: 1-line block ×5, first 2 shown]
	v_fma_f64 v[158:159], v[100:101], s[4:5], -v[187:188]
	v_add_f64 v[24:25], v[32:33], v[116:117]
	v_add_f64 v[26:27], v[34:35], v[88:89]
	v_add_f64 v[28:29], v[32:33], -v[116:117]
	v_add_f64 v[30:31], v[34:35], -v[88:89]
	v_add_f64 v[32:33], v[143:144], v[125:126]
	v_add_f64 v[34:35], v[145:146], v[175:176]
	;; [unrolled: 1-line block ×5, first 2 shown]
	v_add_f64 v[36:37], v[143:144], -v[125:126]
	v_add_f64 v[46:47], v[46:47], -v[56:57]
	v_add_f64 v[52:53], v[80:81], -v[54:55]
	v_add_f64 v[54:55], v[141:142], -v[64:65]
	v_add_f64 v[56:57], v[156:157], v[66:67]
	v_add_f64 v[58:59], v[168:169], v[68:69]
	v_add_f64 v[60:61], v[156:157], -v[66:67]
	v_add_f64 v[64:65], v[121:122], v[70:71]
	v_add_f64 v[62:63], v[168:169], -v[68:69]
	v_add_f64 v[68:69], v[121:122], -v[70:71]
	v_add_f64 v[74:75], v[195:196], v[78:79]
	v_add_f64 v[78:79], v[195:196], -v[78:79]
	v_add_f64 v[145:146], v[127:128], v[162:163]
	v_sub_nc_u16 v80, v170, v83
	v_lshrrev_b32_e32 v89, 19, v134
	v_lshlrev_b32_e32 v81, 5, v84
	s_mov_b32 s4, 0xe8584caa
	s_mov_b32 s5, 0x3febb67a
	;; [unrolled: 1-line block ×3, first 2 shown]
	v_add_f64 v[66:67], v[123:124], v[72:73]
	v_add_f64 v[70:71], v[123:124], -v[72:73]
	v_add_f64 v[72:73], v[177:178], v[76:77]
	v_add_f64 v[90:91], v[112:113], v[98:99]
	;; [unrolled: 1-line block ×3, first 2 shown]
	v_add_f64 v[76:77], v[177:178], -v[76:77]
	v_add_f64 v[94:95], v[112:113], -v[98:99]
	;; [unrolled: 1-line block ×3, first 2 shown]
	v_add_f64 v[98:99], v[147:148], v[104:105]
	v_add_f64 v[100:101], v[154:155], v[139:140]
	;; [unrolled: 1-line block ×5, first 2 shown]
	v_add_f64 v[102:103], v[147:148], -v[104:105]
	v_add_f64 v[104:105], v[154:155], -v[139:140]
	;; [unrolled: 1-line block ×3, first 2 shown]
	v_add_f64 v[147:148], v[160:161], v[164:165]
	v_add_f64 v[149:150], v[118:119], v[171:172]
	v_add_f64 v[141:142], v[198:199], -v[151:152]
	v_add_f64 v[151:152], v[86:87], -v[158:159]
	;; [unrolled: 1-line block ×5, first 2 shown]
	v_lshrrev_b32_e32 v86, 19, v129
	v_lshrrev_b32_e32 v87, 19, v137
	ds_store_b128 v138, v[0:3]
	ds_store_b128 v138, v[24:27] offset:16
	ds_store_b128 v138, v[32:35] offset:32
	;; [unrolled: 1-line block ×29, first 2 shown]
	v_and_b32_e32 v90, 0xff, v80
	v_mul_lo_u16 v4, v110, 10
	v_lshrrev_b32_e32 v94, 19, v130
	v_mul_lo_u16 v5, v115, 10
	v_mul_lo_u16 v6, v82, 10
	v_lshlrev_b32_e32 v7, 5, v90
	v_mul_lo_u16 v8, v111, 10
	v_sub_nc_u16 v4, v136, v4
	v_mul_lo_u16 v9, v86, 10
	v_mul_lo_u16 v10, v87, 10
	;; [unrolled: 1-line block ×4, first 2 shown]
	s_waitcnt lgkmcnt(0)
	s_barrier
	buffer_gl0_inv
	v_sub_nc_u16 v5, v200, v5
	s_clause 0x1
	global_load_b128 v[48:51], v7, s[8:9]
	global_load_b128 v[68:71], v7, s[8:9] offset:16
	v_and_b32_e32 v99, 0xff, v4
	v_sub_nc_u16 v4, v208, v6
	v_sub_nc_u16 v6, v201, v8
	;; [unrolled: 1-line block ×6, first 2 shown]
	v_and_b32_e32 v100, 0xffff, v5
	v_lshlrev_b32_e32 v5, 5, v99
	v_and_b32_e32 v101, 0xffff, v4
	v_and_b32_e32 v102, 0xffff, v6
	;; [unrolled: 1-line block ×6, first 2 shown]
	v_lshlrev_b32_e32 v4, 5, v100
	s_clause 0x1
	global_load_b128 v[72:75], v5, s[8:9]
	global_load_b128 v[64:67], v5, s[8:9] offset:16
	v_lshlrev_b32_e32 v5, 5, v101
	v_lshlrev_b32_e32 v8, 5, v102
	;; [unrolled: 1-line block ×6, first 2 shown]
	s_clause 0xf
	global_load_b128 v[0:3], v81, s[8:9]
	global_load_b128 v[32:35], v81, s[8:9] offset:16
	global_load_b128 v[56:59], v4, s[8:9]
	global_load_b128 v[52:55], v4, s[8:9] offset:16
	;; [unrolled: 2-line block ×8, first 2 shown]
	scratch_load_b32 v80, off, off offset:100 ; 4-byte Folded Reload
	v_mov_b32_e32 v109, v82
	s_clause 0x2
	scratch_load_b32 v82, off, off offset:44
	scratch_load_b32 v200, off, off offset:92
	scratch_load_b32 v201, off, off offset:88
	v_mov_b32_e32 v112, v84
	v_mul_lo_u16 v92, 0x89, v206
	scratch_load_b32 v93, off, off offset:96 ; 4-byte Folded Reload
	v_mul_lo_u16 v91, 0x89, v207
	v_mov_b32_e32 v108, v110
	v_mul_u32_u24_e32 v245, 0x1e0, v86
	v_mul_u32_u24_e32 v246, 0x1e0, v87
	v_mov_b32_e32 v207, v170
	v_lshrrev_b16 v91, 12, v91
	ds_load_b128 v[129:132], v114 offset:25920
	v_mul_u32_u24_e32 v247, 0x1e0, v89
	v_lshlrev_b32_e32 v89, 4, v101
	v_lshlrev_b32_e32 v251, 4, v102
	v_mul_lo_u16 v87, v91, 30
	v_lshlrev_b32_e32 v252, 4, v103
	v_lshlrev_b32_e32 v253, 4, v104
	;; [unrolled: 1-line block ×4, first 2 shown]
	ds_load_b128 v[103:106], v114 offset:27216
	v_sub_nc_u16 v248, v207, v87
	v_lshlrev_b32_e32 v87, 4, v100
	s_mov_b32 s10, s4
	v_mul_u32_u24_e32 v94, 0x1e0, v94
	v_lshrrev_b16 v92, 12, v92
	s_waitcnt vmcnt(4)
	v_mul_lo_u16 v80, 0x89, v80
	s_waitcnt vmcnt(2)
	v_mul_u32_u24_e32 v81, 0x8889, v200
	s_delay_alu instid0(VALU_DEP_2) | instskip(NEXT) | instid1(VALU_DEP_1)
	v_lshrrev_b16 v85, 12, v80
	v_mov_b32_e32 v206, v85
	v_mul_u32_u24_e32 v84, 0x8889, v205
	s_clause 0x1
	scratch_load_b64 v[204:205], off, off offset:60
	scratch_load_b32 v95, off, off offset:40
	v_mul_u32_u24_e32 v88, 0x8889, v82
	scratch_load_b32 v82, off, off offset:20 ; 4-byte Folded Reload
	v_mul_lo_u16 v107, v85, 30
	s_waitcnt vmcnt(4)
	v_mul_u32_u24_e32 v83, 0x8889, v201
	v_lshrrev_b32_e32 v97, 20, v84
	v_mul_u32_u24_e32 v84, 0x1e0, v109
	s_delay_alu instid0(VALU_DEP_3) | instskip(SKIP_1) | instid1(VALU_DEP_3)
	v_lshrrev_b32_e32 v96, 20, v83
	v_and_b32_e32 v83, 0xffff, v108
	v_add3_u32 v84, 0, v84, v89
	s_delay_alu instid0(VALU_DEP_2)
	v_mul_u32_u24_e32 v83, 0x1e0, v83
	s_waitcnt vmcnt(2)
	v_sub_nc_u16 v86, v204, v107
	s_waitcnt vmcnt(1)
	v_mul_u32_u24_e32 v113, 0x8889, v95
	v_lshrrev_b32_e32 v95, 20, v81
	scratch_load_b32 v81, off, off offset:84 ; 4-byte Folded Reload
	v_mul_u32_u24_e32 v80, 0x8889, v93
	s_waitcnt vmcnt(1)
	v_and_b32_e32 v98, 0xffff, v82
	ds_load_b128 v[107:110], v114 offset:12960
	v_mul_u32_u24_e32 v82, 0x1e0, v115
	v_lshrrev_b32_e32 v197, 20, v80
	v_mul_u32_u24_e32 v80, 0x1e0, v98
	v_and_b32_e32 v98, 0xff, v86
	v_lshlrev_b32_e32 v86, 4, v112
	v_add3_u32 v82, 0, v82, v87
	s_waitcnt lgkmcnt(1)
	v_mul_f64 v[111:112], v[105:106], v[70:71]
	v_mul_f64 v[70:71], v[103:104], v[70:71]
	v_lshlrev_b32_e32 v249, 5, v98
	v_add3_u32 v250, 0, v80, v86
	v_lshlrev_b32_e32 v86, 4, v99
	ds_load_b128 v[99:102], v114 offset:14256
	v_lshlrev_b32_e32 v80, 4, v90
	ds_load_b128 v[133:136], v114 offset:15552
	ds_load_b128 v[137:140], v114 offset:16848
	;; [unrolled: 1-line block ×8, first 2 shown]
	v_add3_u32 v83, 0, v83, v86
	v_mul_f64 v[86:87], v[131:132], v[34:35]
	v_mul_f64 v[34:35], v[129:130], v[34:35]
	ds_load_b128 v[165:168], v114 offset:20736
	ds_load_b128 v[169:172], v114 offset:22032
	;; [unrolled: 1-line block ×8, first 2 shown]
	s_waitcnt lgkmcnt(15)
	v_mul_f64 v[115:116], v[135:136], v[74:75]
	v_mul_f64 v[89:90], v[101:102], v[50:51]
	;; [unrolled: 1-line block ×4, first 2 shown]
	s_waitcnt lgkmcnt(13)
	v_mul_f64 v[117:118], v[143:144], v[66:67]
	v_mul_f64 v[66:67], v[141:142], v[66:67]
	v_mul_f64 v[119:120], v[139:140], v[58:59]
	v_mul_f64 v[58:59], v[137:138], v[58:59]
	s_waitcnt lgkmcnt(12)
	v_mul_f64 v[121:122], v[147:148], v[54:55]
	v_mul_f64 v[123:124], v[145:146], v[54:55]
	s_waitcnt lgkmcnt(11)
	v_mul_f64 v[125:126], v[151:152], v[46:47]
	v_mul_f64 v[127:128], v[149:150], v[46:47]
	;; [unrolled: 3-line block ×3, first 2 shown]
	v_mul_f64 v[202:203], v[155:156], v[6:7]
	v_mul_f64 v[6:7], v[153:154], v[6:7]
	s_waitcnt lgkmcnt(7)
	v_mul_f64 v[209:210], v[167:168], v[10:11]
	v_mul_f64 v[211:212], v[165:166], v[10:11]
	s_waitcnt lgkmcnt(4)
	v_mul_f64 v[213:214], v[177:178], v[42:43]
	s_waitcnt lgkmcnt(3)
	v_mul_f64 v[215:216], v[183:184], v[30:31]
	v_mul_f64 v[217:218], v[181:182], v[30:31]
	v_fma_f64 v[103:104], v[103:104], v[68:69], -v[111:112]
	s_waitcnt lgkmcnt(1)
	v_mul_f64 v[111:112], v[191:192], v[26:27]
	v_mul_f64 v[26:27], v[189:190], v[26:27]
	v_fma_f64 v[86:87], v[129:130], v[32:33], -v[86:87]
	v_mul_f64 v[129:130], v[175:176], v[38:39]
	v_mul_f64 v[38:39], v[173:174], v[38:39]
	v_fma_f64 v[34:35], v[131:132], v[32:33], v[34:35]
	v_mul_f64 v[131:132], v[171:172], v[22:23]
	v_mul_f64 v[22:23], v[169:170], v[22:23]
	;; [unrolled: 1-line block ×4, first 2 shown]
	v_fma_f64 v[105:106], v[105:106], v[68:69], v[70:71]
	v_fma_f64 v[115:116], v[133:134], v[72:73], -v[115:116]
	v_fma_f64 v[89:90], v[99:100], v[48:49], -v[89:90]
	v_fma_f64 v[99:100], v[101:102], v[48:49], v[50:51]
	v_mul_f64 v[101:102], v[179:180], v[42:43]
	s_waitcnt lgkmcnt(0)
	v_mul_f64 v[133:134], v[195:196], v[78:79]
	v_mul_f64 v[78:79], v[193:194], v[78:79]
	v_fma_f64 v[74:75], v[135:136], v[72:73], v[74:75]
	v_fma_f64 v[117:118], v[141:142], v[64:65], -v[117:118]
	v_fma_f64 v[135:136], v[143:144], v[64:65], v[66:67]
	v_fma_f64 v[119:120], v[137:138], v[56:57], -v[119:120]
	;; [unrolled: 2-line block ×8, first 2 shown]
	v_fma_f64 v[36:37], v[175:176], v[36:37], v[38:39]
	v_add_f64 v[143:144], v[89:90], v[103:104]
	v_add_f64 v[145:146], v[99:100], v[105:106]
	v_fma_f64 v[38:39], v[177:178], v[40:41], -v[101:102]
	v_fma_f64 v[40:41], v[179:180], v[40:41], v[213:214]
	v_fma_f64 v[101:102], v[189:190], v[24:25], -v[111:112]
	v_fma_f64 v[111:112], v[191:192], v[24:25], v[26:27]
	;; [unrolled: 2-line block ×4, first 2 shown]
	v_add_f64 v[151:152], v[115:116], v[117:118]
	v_add_f64 v[153:154], v[74:75], v[135:136]
	;; [unrolled: 1-line block ×3, first 2 shown]
	v_add_f64 v[167:168], v[58:59], -v[123:124]
	v_add_f64 v[187:188], v[6:7], v[129:130]
	v_add_f64 v[189:190], v[8:9], v[36:37]
	v_add_f64 v[195:196], v[8:9], -v[36:37]
	v_add_f64 v[198:199], v[6:7], -v[129:130]
	v_add_f64 v[225:226], v[24:25], v[60:61]
	v_add_f64 v[227:228], v[26:27], v[76:77]
	v_add_f64 v[239:240], v[24:25], -v[60:61]
	v_add_f64 v[237:238], v[26:27], -v[76:77]
	s_waitcnt vmcnt(0)
	v_and_b32_e32 v81, 0xffff, v81
	s_delay_alu instid0(VALU_DEP_1) | instskip(NEXT) | instid1(VALU_DEP_1)
	v_mul_u32_u24_e32 v81, 0x1e0, v81
	v_add3_u32 v85, 0, v81, v80
	v_mul_f64 v[80:81], v[109:110], v[2:3]
	v_mul_f64 v[2:3], v[107:108], v[2:3]
	s_delay_alu instid0(VALU_DEP_2) | instskip(NEXT) | instid1(VALU_DEP_2)
	v_fma_f64 v[80:81], v[107:108], v[0:1], -v[80:81]
	v_fma_f64 v[107:108], v[109:110], v[0:1], v[2:3]
	v_mul_f64 v[109:110], v[163:164], v[18:19]
	v_mul_f64 v[18:19], v[161:162], v[18:19]
	ds_load_b128 v[0:3], v114
	ds_load_b128 v[30:33], v114 offset:1296
	ds_load_b128 v[46:49], v114 offset:2592
	;; [unrolled: 1-line block ×9, first 2 shown]
	s_waitcnt lgkmcnt(0)
	s_barrier
	buffer_gl0_inv
	v_add_f64 v[147:148], v[32:33], v[99:100]
	v_add_f64 v[149:150], v[30:31], v[89:90]
	;; [unrolled: 1-line block ×8, first 2 shown]
	v_add_f64 v[99:100], v[99:100], -v[105:106]
	v_add_f64 v[89:90], v[89:90], -v[103:104]
	;; [unrolled: 1-line block ×4, first 2 shown]
	v_add_f64 v[193:194], v[42:43], v[6:7]
	v_add_f64 v[231:232], v[70:71], v[24:25]
	;; [unrolled: 1-line block ×4, first 2 shown]
	v_fma_f64 v[109:110], v[161:162], v[16:17], -v[109:110]
	v_fma_f64 v[141:142], v[163:164], v[16:17], v[18:19]
	v_fma_f64 v[16:17], v[169:170], v[20:21], -v[131:132]
	v_fma_f64 v[18:19], v[171:172], v[20:21], v[22:23]
	;; [unrolled: 2-line block ×3, first 2 shown]
	v_add_f64 v[28:29], v[80:81], v[86:87]
	v_add_f64 v[131:132], v[2:3], v[107:108]
	;; [unrolled: 1-line block ×7, first 2 shown]
	v_add_f64 v[107:108], v[107:108], -v[34:35]
	v_add_f64 v[80:81], v[80:81], -v[86:87]
	;; [unrolled: 1-line block ×3, first 2 shown]
	v_add_f64 v[181:182], v[62:63], v[14:15]
	v_add_f64 v[127:128], v[127:128], -v[139:140]
	v_add_f64 v[125:126], v[125:126], -v[137:138]
	v_add_f64 v[229:230], v[72:73], v[26:27]
	v_add_f64 v[6:7], v[147:148], v[105:106]
	v_fma_f64 v[105:106], v[153:154], -0.5, v[48:49]
	v_fma_f64 v[78:79], v[78:79], -0.5, v[2:3]
	v_add_f64 v[175:176], v[14:15], v[109:110]
	v_add_f64 v[177:178], v[4:5], v[141:142]
	;; [unrolled: 1-line block ×7, first 2 shown]
	v_fma_f64 v[241:242], v[28:29], -0.5, v[0:1]
	v_add_f64 v[2:3], v[131:132], v[34:35]
	v_add_f64 v[0:1], v[133:134], v[86:87]
	v_fma_f64 v[86:87], v[143:144], -0.5, v[30:31]
	v_fma_f64 v[131:132], v[145:146], -0.5, v[32:33]
	v_add_f64 v[183:184], v[4:5], -v[141:142]
	v_add_f64 v[211:212], v[66:67], v[16:17]
	v_add_f64 v[4:5], v[149:150], v[103:104]
	v_fma_f64 v[103:104], v[151:152], -0.5, v[46:47]
	v_add_f64 v[185:186], v[14:15], -v[109:110]
	v_add_f64 v[14:15], v[157:158], v[117:118]
	v_fma_f64 v[117:118], v[159:160], -0.5, v[54:55]
	v_fma_f64 v[133:134], v[161:162], -0.5, v[56:57]
	v_add_f64 v[209:210], v[68:69], v[18:19]
	v_add_f64 v[213:214], v[18:19], -v[40:41]
	v_add_f64 v[223:224], v[10:11], v[20:21]
	v_add_f64 v[235:236], v[20:21], -v[101:102]
	v_add_f64 v[20:21], v[163:164], v[123:124]
	v_add_f64 v[18:19], v[165:166], v[121:122]
	v_fma_f64 v[121:122], v[58:59], -0.5, v[50:51]
	v_fma_f64 v[123:124], v[169:170], -0.5, v[52:53]
	v_add_f64 v[215:216], v[16:17], -v[38:39]
	v_add_f64 v[233:234], v[22:23], -v[111:112]
	v_add_f64 v[16:17], v[155:156], v[135:136]
	v_add_f64 v[22:23], v[173:174], v[137:138]
	;; [unrolled: 1-line block ×4, first 2 shown]
	v_fma_f64 v[139:140], v[187:188], -0.5, v[42:43]
	v_fma_f64 v[141:142], v[189:190], -0.5, v[44:45]
	;; [unrolled: 1-line block ×3, first 2 shown]
	v_fma_f64 v[44:45], v[80:81], s[10:11], v[78:79]
	v_fma_f64 v[135:136], v[175:176], -0.5, v[62:63]
	v_fma_f64 v[137:138], v[177:178], -0.5, v[64:65]
	;; [unrolled: 1-line block ×6, first 2 shown]
	v_add_f64 v[10:11], v[221:222], v[111:112]
	v_fma_f64 v[111:112], v[225:226], -0.5, v[70:71]
	v_fma_f64 v[42:43], v[107:108], s[4:5], v[241:242]
	v_fma_f64 v[46:47], v[107:108], s[10:11], v[241:242]
	;; [unrolled: 1-line block ×7, first 2 shown]
	v_add_f64 v[34:35], v[211:212], v[38:39]
	v_add_f64 v[38:39], v[231:232], v[60:61]
	v_fma_f64 v[58:59], v[74:75], s[4:5], v[103:104]
	v_fma_f64 v[60:61], v[115:116], s[10:11], v[105:106]
	;; [unrolled: 1-line block ×8, first 2 shown]
	v_add_f64 v[32:33], v[191:192], v[36:37]
	v_add_f64 v[36:37], v[209:210], v[40:41]
	;; [unrolled: 1-line block ×3, first 2 shown]
	v_fma_f64 v[74:75], v[127:128], s[4:5], v[121:122]
	v_fma_f64 v[76:77], v[125:126], s[10:11], v[123:124]
	v_add_f64 v[8:9], v[223:224], v[101:102]
	v_fma_f64 v[99:100], v[127:128], s[10:11], v[121:122]
	v_fma_f64 v[101:102], v[125:126], s[4:5], v[123:124]
	v_add_f64 v[26:27], v[181:182], v[109:110]
	v_add_f64 v[30:31], v[193:194], v[129:130]
	v_fma_f64 v[129:130], v[195:196], s[4:5], v[139:140]
	v_fma_f64 v[131:132], v[198:199], s[10:11], v[141:142]
	;; [unrolled: 1-line block ×20, first 2 shown]
	v_add3_u32 v12, 0, v244, v251
	v_add3_u32 v13, 0, v245, v252
	v_add3_u32 v78, 0, v246, v253
	v_add3_u32 v79, 0, v247, v254
	v_add3_u32 v80, 0, v94, v255
	ds_store_b128 v250, v[0:3]
	ds_store_b128 v250, v[42:45] offset:160
	ds_store_b128 v250, v[46:49] offset:320
	ds_store_b128 v85, v[4:7]
	ds_store_b128 v85, v[50:53] offset:160
	ds_store_b128 v85, v[54:57] offset:320
	;; [unrolled: 3-line block ×10, first 2 shown]
	s_waitcnt lgkmcnt(0)
	s_barrier
	buffer_gl0_inv
	s_clause 0x3
	scratch_load_b32 v255, off, off offset:52
	scratch_load_b32 v250, off, off offset:48
	;; [unrolled: 1-line block ×4, first 2 shown]
	v_mul_lo_u16 v4, v92, 30
	v_mul_lo_u16 v6, v197, 30
	;; [unrolled: 1-line block ×3, first 2 shown]
	v_and_b32_e32 v99, 0xff, v248
	v_mul_lo_u16 v8, v96, 30
	v_mul_lo_u16 v9, v97, 30
	scratch_store_b32 off, v208, off offset:68 ; 4-byte Folded Spill
	v_sub_nc_u16 v7, v208, v7
	v_lshlrev_b32_e32 v5, 5, v99
	s_clause 0x1
	global_load_b128 v[0:3], v249, s[8:9] offset:320
	global_load_b128 v[16:19], v249, s[8:9] offset:336
	v_lshrrev_b32_e32 v100, 20, v88
	v_and_b32_e32 v105, 0xffff, v7
	s_clause 0x1
	global_load_b128 v[24:27], v5, s[8:9] offset:320
	global_load_b128 v[20:23], v5, s[8:9] offset:336
	v_lshrrev_b32_e32 v101, 20, v113
	v_lshrrev_b32_e32 v102, 20, v243
	v_mov_b32_e32 v81, v204
	v_mov_b32_e32 v113, 0
	v_and_b32_e32 v83, 0xffff, v206
	v_mul_lo_u16 v36, v101, 30
	v_mul_lo_u16 v52, v102, 30
	v_add_nc_u32_e32 v80, -9, v81
	v_cmp_gt_u32_e64 s0, 9, v81
	v_lshlrev_b32_e32 v112, 1, v81
	v_mul_u32_u24_e32 v111, 0x2d83, v93
	v_mul_u32_u24_e32 v86, 0x5a0, v95
	;; [unrolled: 1-line block ×3, first 2 shown]
	v_cndmask_b32_e64 v90, v80, v207, s0
	v_lshlrev_b64 v[80:81], 4, v[112:113]
	v_mul_u32_u24_e32 v93, 0x5a0, v97
	v_mov_b32_e32 v248, v204
	v_mul_u32_u24_e32 v203, 0x5a0, v100
	v_mul_u32_u24_e32 v204, 0x5a0, v101
	;; [unrolled: 1-line block ×3, first 2 shown]
	v_add_co_u32 v88, s0, s8, v80
	s_delay_alu instid0(VALU_DEP_1) | instskip(SKIP_4) | instid1(VALU_DEP_4)
	v_add_co_ci_u32_e64 v89, s0, s9, v81, s0
	v_and_b32_e32 v84, 0xffff, v92
	v_mul_u32_u24_e32 v85, 0x5a0, v197
	v_mul_u32_u24_e32 v126, 0x2d83, v200
	;; [unrolled: 1-line block ×4, first 2 shown]
	s_waitcnt vmcnt(7)
	v_sub_nc_u16 v4, v255, v4
	s_delay_alu instid0(VALU_DEP_1) | instskip(SKIP_3) | instid1(VALU_DEP_3)
	v_and_b32_e32 v103, 0xff, v4
	s_waitcnt vmcnt(5)
	v_sub_nc_u16 v4, v254, v6
	v_mul_lo_u16 v6, v100, 30
	v_lshlrev_b32_e32 v5, 5, v103
	s_delay_alu instid0(VALU_DEP_3)
	v_and_b32_e32 v104, 0xffff, v4
	s_waitcnt vmcnt(4)
	v_sub_nc_u16 v4, v205, v8
	v_sub_nc_u16 v8, v250, v9
	v_lshlrev_b32_e32 v92, 4, v103
	s_clause 0x1
	global_load_b128 v[48:51], v5, s[8:9] offset:320
	global_load_b128 v[44:47], v5, s[8:9] offset:336
	v_lshlrev_b32_e32 v7, 5, v104
	v_and_b32_e32 v106, 0xffff, v4
	v_lshlrev_b32_e32 v4, 5, v105
	v_and_b32_e32 v107, 0xffff, v8
	v_add3_u32 v84, 0, v84, v92
	s_clause 0x2
	global_load_b128 v[32:35], v7, s[8:9] offset:320
	global_load_b128 v[28:31], v7, s[8:9] offset:336
	global_load_b128 v[8:11], v4, s[8:9] offset:320
	s_clause 0x1
	scratch_load_b32 v253, off, off offset:56
	scratch_load_b32 v252, off, off offset:32
	v_lshlrev_b32_e32 v37, 5, v106
	v_lshlrev_b32_e32 v53, 5, v107
	;; [unrolled: 1-line block ×4, first 2 shown]
	global_load_b128 v[12:15], v37, s[8:9] offset:320
	s_waitcnt vmcnt(2)
	v_sub_nc_u16 v38, v253, v6
	global_load_b128 v[4:7], v4, s[8:9] offset:336
	s_waitcnt vmcnt(2)
	v_sub_nc_u16 v54, v252, v36
	v_and_b32_e32 v108, 0xffff, v38
	s_clause 0x1
	global_load_b128 v[36:39], v37, s[8:9] offset:336
	global_load_b128 v[40:43], v53, s[8:9] offset:320
	scratch_load_b32 v251, off, off offset:16 ; 4-byte Folded Reload
	v_and_b32_e32 v109, 0xffff, v54
	v_lshlrev_b32_e32 v60, 5, v108
	v_lshlrev_b32_e32 v245, 4, v108
	s_delay_alu instid0(VALU_DEP_3)
	v_lshlrev_b32_e32 v62, 5, v109
	v_lshlrev_b32_e32 v246, 4, v109
	s_waitcnt vmcnt(0)
	v_sub_nc_u16 v61, v251, v52
	s_clause 0x3
	global_load_b128 v[52:55], v53, s[8:9] offset:336
	global_load_b128 v[56:59], v60, s[8:9] offset:320
	;; [unrolled: 1-line block ×4, first 2 shown]
	v_and_b32_e32 v110, 0xffff, v61
	s_delay_alu instid0(VALU_DEP_1)
	v_lshlrev_b32_e32 v76, 5, v110
	s_clause 0x2
	global_load_b128 v[60:63], v62, s[8:9] offset:336
	global_load_b128 v[72:75], v76, s[8:9] offset:320
	;; [unrolled: 1-line block ×3, first 2 shown]
	scratch_load_b32 v82, off, off offset:80 ; 4-byte Folded Reload
	scratch_store_b64 off, v[112:113], off offset:20 ; 8-byte Folded Spill
	v_lshlrev_b32_e32 v112, 1, v90
	v_lshlrev_b32_e32 v247, 4, v110
	ds_load_b128 v[107:110], v114 offset:27216
	v_lshlrev_b64 v[80:81], 4, v[112:113]
	v_lshlrev_b32_e32 v112, 4, v104
	v_lshlrev_b32_e32 v113, 4, v105
	ds_load_b128 v[103:106], v114 offset:14256
	v_add3_u32 v85, 0, v85, v112
	v_add3_u32 v86, 0, v86, v113
	s_waitcnt lgkmcnt(1)
	v_mul_f64 v[117:118], v[109:110], v[22:23]
	v_mul_f64 v[22:23], v[107:108], v[22:23]
	s_waitcnt lgkmcnt(0)
	v_mul_f64 v[115:116], v[105:106], v[26:27]
	v_mul_f64 v[26:27], v[103:104], v[26:27]
	s_delay_alu instid0(VALU_DEP_4) | instskip(NEXT) | instid1(VALU_DEP_4)
	v_fma_f64 v[107:108], v[107:108], v[20:21], -v[117:118]
	v_fma_f64 v[109:110], v[109:110], v[20:21], v[22:23]
	s_delay_alu instid0(VALU_DEP_4) | instskip(NEXT) | instid1(VALU_DEP_4)
	v_fma_f64 v[103:104], v[103:104], v[24:25], -v[115:116]
	v_fma_f64 v[105:106], v[105:106], v[24:25], v[26:27]
	s_waitcnt vmcnt(0)
	v_mul_lo_u16 v82, 0xb7, v82
	s_delay_alu instid0(VALU_DEP_1)
	v_lshrrev_b16 v94, 14, v82
	v_mul_u32_u24_e32 v82, 0x5a0, v83
	v_and_b32_e32 v83, 0xffff, v91
	v_lshlrev_b32_e32 v91, 4, v98
	ds_load_b128 v[95:98], v114 offset:12960
	v_mul_u32_u24_e32 v83, 0x5a0, v83
	v_add3_u32 v82, 0, v82, v91
	v_lshlrev_b32_e32 v91, 4, v99
	ds_load_b128 v[99:102], v114 offset:25920
	ds_load_b128 v[127:130], v114 offset:15552
	;; [unrolled: 1-line block ×13, first 2 shown]
	v_add3_u32 v83, 0, v83, v91
	ds_load_b128 v[175:178], v114 offset:23328
	ds_load_b128 v[179:182], v114 offset:24624
	;; [unrolled: 1-line block ×4, first 2 shown]
	ds_load_b128 v[191:194], v114
	ds_load_b128 v[195:198], v114 offset:1296
	s_waitcnt lgkmcnt(19)
	v_mul_f64 v[91:92], v[97:98], v[2:3]
	v_mul_f64 v[2:3], v[95:96], v[2:3]
	s_waitcnt lgkmcnt(17)
	v_mul_f64 v[119:120], v[129:130], v[50:51]
	v_mul_f64 v[50:51], v[127:128], v[50:51]
	v_mul_f64 v[112:113], v[101:102], v[18:19]
	v_mul_f64 v[18:19], v[99:100], v[18:19]
	s_waitcnt lgkmcnt(15)
	v_mul_f64 v[121:122], v[137:138], v[46:47]
	v_mul_f64 v[46:47], v[135:136], v[46:47]
	;; [unrolled: 5-line block ×3, first 2 shown]
	s_waitcnt lgkmcnt(13)
	v_mul_f64 v[201:202], v[145:146], v[10:11]
	v_mul_f64 v[10:11], v[143:144], v[10:11]
	s_waitcnt lgkmcnt(11)
	v_mul_f64 v[209:210], v[153:154], v[6:7]
	v_mul_f64 v[211:212], v[151:152], v[6:7]
	;; [unrolled: 1-line block ×3, first 2 shown]
	s_waitcnt lgkmcnt(10)
	v_mul_f64 v[215:216], v[157:158], v[38:39]
	v_mul_f64 v[38:39], v[155:156], v[38:39]
	s_waitcnt lgkmcnt(9)
	v_mul_f64 v[217:218], v[161:162], v[42:43]
	s_waitcnt lgkmcnt(7)
	v_mul_f64 v[219:220], v[169:170], v[54:55]
	v_mul_f64 v[54:55], v[167:168], v[54:55]
	;; [unrolled: 1-line block ×4, first 2 shown]
	s_waitcnt lgkmcnt(6)
	v_mul_f64 v[115:116], v[173:174], v[70:71]
	v_mul_f64 v[70:71], v[171:172], v[70:71]
	s_waitcnt lgkmcnt(5)
	v_mul_f64 v[223:224], v[177:178], v[66:67]
	v_mul_f64 v[66:67], v[175:176], v[66:67]
	;; [unrolled: 3-line block ×3, first 2 shown]
	v_mul_f64 v[225:226], v[181:182], v[74:75]
	v_fma_f64 v[91:92], v[95:96], v[0:1], -v[91:92]
	v_fma_f64 v[95:96], v[97:98], v[0:1], v[2:3]
	v_mul_f64 v[97:98], v[147:148], v[14:15]
	v_fma_f64 v[119:120], v[127:128], v[48:49], -v[119:120]
	v_fma_f64 v[48:49], v[129:130], v[48:49], v[50:51]
	v_fma_f64 v[99:100], v[99:100], v[16:17], -v[112:113]
	v_mul_f64 v[112:113], v[159:160], v[42:43]
	v_mul_f64 v[50:51], v[179:180], v[74:75]
	s_waitcnt lgkmcnt(2)
	v_mul_f64 v[74:75], v[189:190], v[78:79]
	v_mul_f64 v[78:79], v[187:188], v[78:79]
	v_fma_f64 v[101:102], v[101:102], v[16:17], v[18:19]
	v_fma_f64 v[121:122], v[135:136], v[44:45], -v[121:122]
	v_fma_f64 v[46:47], v[137:138], v[44:45], v[46:47]
	v_fma_f64 v[123:124], v[131:132], v[32:33], -v[123:124]
	;; [unrolled: 2-line block ×6, first 2 shown]
	v_fma_f64 v[38:39], v[157:158], v[36:37], v[38:39]
	ds_load_b128 v[0:3], v114 offset:2592
	ds_load_b128 v[14:17], v114 offset:3888
	;; [unrolled: 1-line block ×6, first 2 shown]
	v_add_f64 v[137:138], v[103:104], v[107:108]
	v_add_f64 v[139:140], v[105:106], v[109:110]
	s_waitcnt lgkmcnt(6)
	v_add_f64 v[141:142], v[197:198], v[105:106]
	v_add_f64 v[143:144], v[195:196], v[103:104]
	ds_load_b128 v[6:9], v114 offset:10368
	ds_load_b128 v[42:45], v114 offset:11664
	v_add_f64 v[105:106], v[105:106], -v[109:110]
	v_add_f64 v[103:104], v[103:104], -v[107:108]
	s_waitcnt lgkmcnt(0)
	s_waitcnt_vscnt null, 0x0
	s_barrier
	buffer_gl0_inv
	v_fma_f64 v[12:13], v[149:150], v[12:13], v[97:98]
	v_fma_f64 v[97:98], v[155:156], v[36:37], -v[215:216]
	v_fma_f64 v[36:37], v[159:160], v[40:41], -v[217:218]
	v_add_f64 v[149:150], v[2:3], v[48:49]
	v_add_f64 v[151:152], v[0:1], v[119:120]
	v_fma_f64 v[40:41], v[161:162], v[40:41], v[112:113]
	v_fma_f64 v[112:113], v[167:168], v[52:53], -v[219:220]
	v_fma_f64 v[52:53], v[169:170], v[52:53], v[54:55]
	v_fma_f64 v[54:55], v[163:164], v[56:57], -v[221:222]
	;; [unrolled: 2-line block ×7, first 2 shown]
	v_fma_f64 v[74:75], v[189:190], v[76:77], v[78:79]
	v_add_f64 v[76:77], v[91:92], v[99:100]
	v_add_f64 v[78:79], v[95:96], v[101:102]
	;; [unrolled: 1-line block ×4, first 2 shown]
	v_add_f64 v[153:154], v[48:49], -v[46:47]
	v_add_f64 v[48:49], v[123:124], v[127:128]
	v_add_f64 v[155:156], v[34:35], v[129:130]
	;; [unrolled: 1-line block ×6, first 2 shown]
	v_add_f64 v[95:96], v[95:96], -v[101:102]
	v_add_f64 v[91:92], v[91:92], -v[99:100]
	;; [unrolled: 1-line block ×3, first 2 shown]
	v_add_f64 v[157:158], v[16:17], v[34:35]
	v_add_f64 v[159:160], v[14:15], v[123:124]
	v_add_f64 v[161:162], v[34:35], -v[129:130]
	v_add_f64 v[123:124], v[123:124], -v[127:128]
	v_add_f64 v[175:176], v[12:13], v[38:39]
	v_add_f64 v[173:174], v[135:136], v[97:98]
	v_add_f64 v[189:190], v[26:27], v[36:37]
	v_add_f64 v[167:168], v[20:21], v[10:11]
	v_add_f64 v[177:178], v[24:25], v[12:13]
	v_add_f64 v[187:188], v[28:29], v[40:41]
	v_add_f64 v[183:184], v[36:37], v[112:113]
	v_add_f64 v[185:186], v[40:41], v[52:53]
	v_add_f64 v[199:200], v[40:41], -v[52:53]
	v_add_f64 v[213:214], v[30:31], v[54:55]
	v_add_f64 v[40:41], v[54:55], v[58:59]
	;; [unrolled: 1-line block ×3, first 2 shown]
	v_add_f64 v[233:234], v[54:55], -v[58:59]
	v_add_f64 v[211:212], v[32:33], v[56:57]
	v_add_f64 v[215:216], v[70:71], v[66:67]
	;; [unrolled: 1-line block ×7, first 2 shown]
	v_add_f64 v[239:240], v[50:51], -v[74:75]
	v_fma_f64 v[50:51], v[76:77], -0.5, v[191:192]
	v_fma_f64 v[54:55], v[78:79], -0.5, v[193:194]
	v_add_f64 v[231:232], v[56:57], -v[68:69]
	v_add_f64 v[241:242], v[62:63], -v[72:73]
	v_fma_f64 v[56:57], v[137:138], -0.5, v[195:196]
	v_fma_f64 v[62:63], v[139:140], -0.5, v[197:198]
	v_add_f64 v[219:220], v[8:9], v[64:65]
	v_add_f64 v[221:222], v[6:7], v[70:71]
	v_add_f64 v[235:236], v[64:65], -v[60:61]
	v_add_f64 v[237:238], v[70:71], -v[66:67]
	v_fma_f64 v[64:65], v[145:146], -0.5, v[0:1]
	v_fma_f64 v[70:71], v[147:148], -0.5, v[2:3]
	;; [unrolled: 1-line block ×4, first 2 shown]
	v_add_f64 v[169:170], v[18:19], v[131:132]
	v_add_f64 v[171:172], v[10:11], -v[4:5]
	v_add_f64 v[131:132], v[131:132], -v[133:134]
	;; [unrolled: 1-line block ×3, first 2 shown]
	v_add_f64 v[12:13], v[115:116], v[101:102]
	v_add_f64 v[10:11], v[117:118], v[99:100]
	v_fma_f64 v[99:100], v[163:164], -0.5, v[18:19]
	v_fma_f64 v[101:102], v[165:166], -0.5, v[20:21]
	v_add_f64 v[179:180], v[22:23], v[135:136]
	v_add_f64 v[135:136], v[135:136], -v[97:98]
	v_add_f64 v[201:202], v[36:37], -v[112:113]
	v_add_f64 v[36:37], v[141:142], v[109:110]
	v_add_f64 v[34:35], v[143:144], v[107:108]
	v_fma_f64 v[107:108], v[173:174], -0.5, v[22:23]
	v_fma_f64 v[109:110], v[175:176], -0.5, v[24:25]
	v_fma_f64 v[115:116], v[183:184], -0.5, v[26:27]
	v_fma_f64 v[117:118], v[185:186], -0.5, v[28:29]
	v_add_f64 v[0:1], v[151:152], v[121:122]
	v_add_f64 v[26:27], v[189:190], v[112:113]
	v_fma_f64 v[112:113], v[40:41], -0.5, v[30:31]
	v_fma_f64 v[121:122], v[209:210], -0.5, v[32:33]
	;; [unrolled: 1-line block ×4, first 2 shown]
	v_add_f64 v[2:3], v[149:150], v[46:47]
	v_fma_f64 v[149:150], v[223:224], -0.5, v[42:43]
	v_fma_f64 v[155:156], v[225:226], -0.5, v[44:45]
	v_fma_f64 v[42:43], v[95:96], s[4:5], v[50:51]
	v_fma_f64 v[44:45], v[91:92], s[10:11], v[54:55]
	;; [unrolled: 1-line block ×4, first 2 shown]
	v_add_f64 v[28:29], v[187:188], v[52:53]
	v_fma_f64 v[50:51], v[105:106], s[4:5], v[56:57]
	v_fma_f64 v[52:53], v[103:104], s[10:11], v[62:63]
	;; [unrolled: 1-line block ×4, first 2 shown]
	v_add_f64 v[30:31], v[213:214], v[58:59]
	v_add_f64 v[6:7], v[219:220], v[60:61]
	v_fma_f64 v[58:59], v[153:154], s[4:5], v[64:65]
	v_fma_f64 v[60:61], v[119:120], s[10:11], v[70:71]
	;; [unrolled: 1-line block ×4, first 2 shown]
	v_add_f64 v[16:17], v[157:158], v[129:130]
	v_add_f64 v[14:15], v[159:160], v[127:128]
	;; [unrolled: 1-line block ×5, first 2 shown]
	v_fma_f64 v[66:67], v[161:162], s[4:5], v[76:77]
	v_fma_f64 v[68:69], v[123:124], s[10:11], v[78:79]
	v_add_f64 v[24:25], v[177:178], v[38:39]
	v_add_f64 v[38:39], v[229:230], v[72:73]
	v_fma_f64 v[70:71], v[161:162], s[10:11], v[76:77]
	v_fma_f64 v[72:73], v[123:124], s[4:5], v[78:79]
	v_add_f64 v[18:19], v[169:170], v[133:134]
	v_add_f64 v[40:41], v[227:228], v[74:75]
	v_fma_f64 v[74:75], v[171:172], s[4:5], v[99:100]
	v_fma_f64 v[76:77], v[131:132], s[10:11], v[101:102]
	v_add_f64 v[22:23], v[179:180], v[97:98]
	v_fma_f64 v[95:96], v[171:172], s[10:11], v[99:100]
	v_fma_f64 v[97:98], v[131:132], s[4:5], v[101:102]
	v_fma_f64 v[99:100], v[181:182], s[4:5], v[107:108]
	v_fma_f64 v[101:102], v[135:136], s[10:11], v[109:110]
	v_fma_f64 v[103:104], v[181:182], s[10:11], v[107:108]
	v_fma_f64 v[105:106], v[135:136], s[4:5], v[109:110]
	v_fma_f64 v[107:108], v[199:200], s[4:5], v[115:116]
	v_fma_f64 v[109:110], v[201:202], s[10:11], v[117:118]
	v_fma_f64 v[127:128], v[199:200], s[10:11], v[115:116]
	v_fma_f64 v[129:130], v[201:202], s[4:5], v[117:118]
	v_fma_f64 v[131:132], v[231:232], s[4:5], v[112:113]
	v_fma_f64 v[133:134], v[233:234], s[10:11], v[121:122]
	v_fma_f64 v[135:136], v[231:232], s[10:11], v[112:113]
	v_fma_f64 v[137:138], v[233:234], s[4:5], v[121:122]
	v_fma_f64 v[139:140], v[235:236], s[4:5], v[141:142]
	v_fma_f64 v[143:144], v[235:236], s[10:11], v[141:142]
	v_fma_f64 v[141:142], v[237:238], s[10:11], v[8:9]
	v_fma_f64 v[145:146], v[237:238], s[4:5], v[8:9]
	v_fma_f64 v[147:148], v[239:240], s[4:5], v[149:150]
	v_fma_f64 v[151:152], v[239:240], s[10:11], v[149:150]
	v_fma_f64 v[149:150], v[241:242], s[10:11], v[155:156]
	v_fma_f64 v[153:154], v[241:242], s[4:5], v[155:156]
	v_add3_u32 v8, 0, v87, v243
	v_add3_u32 v9, 0, v93, v244
	v_add3_u32 v78, 0, v203, v245
	v_add3_u32 v79, 0, v204, v246
	v_add3_u32 v87, 0, v206, v247
	ds_store_b128 v82, v[10:13]
	ds_store_b128 v82, v[42:45] offset:480
	ds_store_b128 v82, v[46:49] offset:960
	ds_store_b128 v83, v[34:37]
	ds_store_b128 v83, v[50:53] offset:480
	ds_store_b128 v83, v[54:57] offset:960
	;; [unrolled: 3-line block ×10, first 2 shown]
	s_waitcnt lgkmcnt(0)
	s_barrier
	buffer_gl0_inv
	global_load_b128 v[0:3], v[88:89], off offset:1280
	scratch_load_b32 v108, off, off offset:76 ; 4-byte Folded Reload
	v_add_co_u32 v12, s0, s8, v80
	v_mul_lo_u16 v8, 0x5a, v94
	v_add_co_ci_u32_e64 v13, s0, s9, v81, s0
	v_mov_b32_e32 v91, v255
	s_clause 0x1
	scratch_load_b32 v85, off, off offset:44
	scratch_load_b32 v87, off, off offset:40
	global_load_b128 v[4:7], v[88:89], off offset:1296
	v_lshrrev_b32_e32 v95, 20, v111
	v_sub_nc_u16 v16, v91, v8
	global_load_b128 v[8:11], v[12:13], off offset:1280
	scratch_load_b32 v107, off, off offset:72 ; 4-byte Folded Reload
	v_lshrrev_b32_e32 v96, 20, v126
	v_mov_b32_e32 v84, v254
	v_mul_lo_u16 v20, 0x5a, v95
	v_and_b32_e32 v135, 0xff, v16
	v_lshrrev_b32_e32 v97, 20, v125
	global_load_b128 v[16:19], v[12:13], off offset:1296
	v_mov_b32_e32 v123, v250
	v_sub_nc_u16 v13, v84, v20
	v_lshlrev_b32_e32 v12, 5, v135
	v_dual_mov_b32 v122, v253 :: v_dual_mov_b32 v121, v252
	v_mov_b32_e32 v86, v251
	s_delay_alu instid0(VALU_DEP_4)
	v_and_b32_e32 v136, 0xffff, v13
	s_clause 0x1
	global_load_b128 v[20:23], v12, s[8:9] offset:1280
	global_load_b128 v[64:67], v12, s[8:9] offset:1296
	v_subrev_nc_u32_e32 v82, 27, v248
	v_cmp_lt_u32_e64 s0, 8, v248
	v_lshlrev_b32_e32 v12, 5, v136
	v_dual_mov_b32 v138, v248 :: v_dual_lshlrev_b32 v91, 1, v91
	v_lshlrev_b32_e32 v80, 1, v207
	s_delay_alu instid0(VALU_DEP_4)
	v_cndmask_b32_e64 v83, 0, 0x10e0, s0
	s_clause 0x1
	global_load_b128 v[68:71], v12, s[8:9] offset:1280
	global_load_b128 v[44:47], v12, s[8:9] offset:1296
	v_cmp_gt_u32_e64 s0, 27, v138
	v_and_b32_e32 v112, 0xffff, v94
	v_mul_u32_u24_e32 v119, 0x10e0, v96
	v_mul_u32_u24_e32 v120, 0x10e0, v97
	;; [unrolled: 1-line block ×3, first 2 shown]
	v_cndmask_b32_e64 v139, v82, v84, s0
	v_lshlrev_b32_e32 v82, 4, v90
	v_mul_u32_u24_e32 v118, 0x10e0, v112
	s_delay_alu instid0(VALU_DEP_2) | instskip(SKIP_3) | instid1(VALU_DEP_2)
	v_add3_u32 v124, 0, v83, v82
	s_waitcnt vmcnt(10)
	v_mul_u32_u24_e32 v14, 0x2d83, v108
	v_mul_u32_u24_e32 v84, 0x795d, v108
	v_lshrrev_b32_e32 v98, 20, v14
	v_mul_lo_u16 v14, 0x5a, v96
	s_waitcnt vmcnt(9)
	v_mul_u32_u24_e32 v15, 0x2d83, v85
	s_waitcnt vmcnt(8)
	v_mul_u32_u24_e32 v24, 0x2d83, v87
	v_mul_u32_u24_e32 v85, 0x795d, v85
	;; [unrolled: 1-line block ×3, first 2 shown]
	v_sub_nc_u16 v13, v208, v14
	v_mul_lo_u16 v14, 0x5a, v97
	s_waitcnt vmcnt(5)
	v_mul_u32_u24_e32 v25, 0x2d83, v107
	v_lshrrev_b32_e32 v99, 20, v15
	v_lshrrev_b32_e32 v100, 20, v24
	v_and_b32_e32 v137, 0xffff, v13
	v_sub_nc_u16 v13, v205, v14
	v_mul_lo_u16 v14, 0x5a, v98
	v_lshrrev_b32_e32 v15, 20, v25
	v_mul_lo_u16 v24, 0x5a, v99
	v_mul_lo_u16 v12, 0x5a, v100
	v_and_b32_e32 v132, 0xffff, v13
	v_sub_nc_u16 v13, v123, v14
	v_mul_lo_u16 v40, 0x5a, v15
	v_lshlrev_b32_e32 v25, 5, v137
	v_sub_nc_u16 v42, v121, v12
	v_lshlrev_b32_e32 v14, 5, v132
	v_and_b32_e32 v131, 0xffff, v13
	v_sub_nc_u16 v13, v122, v24
	v_sub_nc_u16 v53, v86, v40
	v_and_b32_e32 v133, 0xffff, v42
	s_clause 0x1
	global_load_b128 v[28:31], v25, s[8:9] offset:1280
	global_load_b128 v[36:39], v14, s[8:9] offset:1280
	v_and_b32_e32 v134, 0xffff, v13
	v_and_b32_e32 v130, 0xffff, v53
	v_lshlrev_b32_e32 v41, 5, v131
	v_lshlrev_b32_e32 v54, 5, v133
	global_load_b128 v[24:27], v25, s[8:9] offset:1296
	v_lshlrev_b32_e32 v52, 5, v134
	v_lshlrev_b32_e32 v76, 5, v130
	s_clause 0x8
	global_load_b128 v[32:35], v14, s[8:9] offset:1296
	global_load_b128 v[12:15], v41, s[8:9] offset:1280
	;; [unrolled: 1-line block ×9, first 2 shown]
	scratch_load_b64 v[248:249], off, off offset:20 ; 8-byte Folded Reload
	v_mul_u32_u24_e32 v90, 0x795d, v107
	v_lshrrev_b32_e32 v107, 23, v84
	v_lshrrev_b32_e32 v82, 23, v85
	;; [unrolled: 1-line block ×3, first 2 shown]
	v_mul_u32_u24_e32 v94, 0x10e0, v100
	v_lshrrev_b32_e32 v84, 23, v90
	v_add_co_u32 v90, s0, 0x1000, v88
	v_mul_lo_u16 v113, 0x10e, v107
	v_mul_u32_u24_e32 v230, 0x10e0, v98
	v_mul_u32_u24_e32 v231, 0x10e0, v99
	ds_load_b128 v[140:143], v114 offset:12960
	ds_load_b128 v[148:151], v114 offset:14256
	;; [unrolled: 1-line block ×4, first 2 shown]
	v_lshlrev_b32_e32 v232, 4, v131
	v_lshlrev_b32_e32 v233, 4, v134
	;; [unrolled: 1-line block ×3, first 2 shown]
	v_mul_lo_u16 v82, 0x10e, v82
	v_mul_lo_u16 v83, 0x10e, v83
	;; [unrolled: 1-line block ×3, first 2 shown]
	v_lshl_add_u32 v255, v130, 4, 0
	s_clause 0x1
	scratch_store_b32 off, v107, off offset:40
	scratch_store_b32 off, v94, off offset:80
	ds_load_b128 v[156:159], v114 offset:28512
	s_waitcnt vmcnt(15) lgkmcnt(0)
	v_mul_f64 v[216:217], v[158:159], v[66:67]
	v_mul_f64 v[66:67], v[156:157], v[66:67]
	s_delay_alu instid0(VALU_DEP_2) | instskip(NEXT) | instid1(VALU_DEP_2)
	v_fma_f64 v[156:157], v[156:157], v[64:65], -v[216:217]
	v_fma_f64 v[64:65], v[158:159], v[64:65], v[66:67]
	s_waitcnt vmcnt(0)
	v_mov_b32_e32 v92, v249
	v_mov_b32_e32 v81, v249
	;; [unrolled: 1-line block ×3, first 2 shown]
	v_dual_mov_b32 v102, v249 :: v_dual_add_nc_u32 v101, 0x6c, v248
	s_delay_alu instid0(VALU_DEP_4) | instskip(SKIP_4) | instid1(VALU_DEP_4)
	v_lshlrev_b64 v[103:104], 4, v[91:92]
	v_lshlrev_b32_e32 v92, 1, v139
	v_lshlrev_b64 v[80:81], 4, v[80:81]
	v_add_co_ci_u32_e64 v91, s0, 0, v89, s0
	v_add_nc_u32_e32 v248, 0x10e, v248
	v_lshlrev_b64 v[110:111], 4, v[92:93]
	v_add_co_u32 v92, s0, 0x1040, v88
	s_delay_alu instid0(VALU_DEP_1) | instskip(SKIP_2) | instid1(VALU_DEP_1)
	v_add_co_ci_u32_e64 v93, s0, 0, v89, s0
	v_lshlrev_b64 v[101:102], 4, v[101:102]
	v_add_co_u32 v127, s0, s8, v80
	v_add_co_ci_u32_e64 v128, s0, s9, v81, s0
	v_lshlrev_b64 v[105:106], 4, v[248:249]
	v_add_co_u32 v125, s0, s8, v103
	s_delay_alu instid0(VALU_DEP_1) | instskip(SKIP_1) | instid1(VALU_DEP_1)
	v_add_co_ci_u32_e64 v126, s0, s9, v104, s0
	v_add_co_u32 v80, s0, s8, v101
	v_add_co_ci_u32_e64 v81, s0, s9, v102, s0
	v_add_co_u32 v85, s0, s8, v105
	s_delay_alu instid0(VALU_DEP_1) | instskip(SKIP_4) | instid1(VALU_DEP_1)
	v_add_co_ci_u32_e64 v87, s0, s9, v106, s0
	v_add_co_u32 v106, s0, 0x1000, v127
	scratch_store_b64 off, v[248:249], off offset:20 ; 8-byte Folded Spill
	v_add_co_ci_u32_e64 v107, s0, 0, v128, s0
	v_add_co_u32 v108, s0, 0x1040, v127
	v_add_co_ci_u32_e64 v109, s0, 0, v128, s0
	v_add_co_u32 v96, s0, 0x1000, v125
	s_delay_alu instid0(VALU_DEP_1) | instskip(SKIP_1) | instid1(VALU_DEP_1)
	v_add_co_ci_u32_e64 v97, s0, 0, v126, s0
	v_add_co_u32 v102, s0, 0x1040, v125
	v_add_co_ci_u32_e64 v103, s0, 0, v126, s0
	v_add_co_u32 v115, s0, s8, v110
	s_delay_alu instid0(VALU_DEP_1) | instskip(SKIP_1) | instid1(VALU_DEP_1)
	;; [unrolled: 5-line block ×3, first 2 shown]
	v_add_co_ci_u32_e64 v99, s0, 0, v81, s0
	v_add_co_u32 v100, s0, 0x1000, v85
	v_add_co_ci_u32_e64 v101, s0, 0, v87, s0
	v_add_co_u32 v104, s0, 0x1040, v85
	s_delay_alu instid0(VALU_DEP_1)
	v_add_co_ci_u32_e64 v105, s0, 0, v87, s0
	v_lshlrev_b32_e32 v87, 4, v132
	ds_load_b128 v[131:134], v114 offset:27216
	v_sub_nc_u16 v80, v123, v113
	v_sub_nc_u16 v81, v122, v82
	;; [unrolled: 1-line block ×4, first 2 shown]
	v_add_co_u32 v110, s0, 0x1000, v115
	v_and_b32_e32 v84, 0xffff, v80
	v_and_b32_e32 v85, 0xffff, v81
	;; [unrolled: 1-line block ×4, first 2 shown]
	v_lshlrev_b32_e32 v82, 4, v135
	v_lshlrev_b32_e32 v135, 4, v136
	;; [unrolled: 1-line block ×3, first 2 shown]
	v_add_co_ci_u32_e64 v111, s0, 0, v116, s0
	v_add_co_u32 v112, s0, 0x1040, v115
	s_delay_alu instid0(VALU_DEP_1)
	v_add_co_ci_u32_e64 v113, s0, 0, v116, s0
	s_clause 0x3
	scratch_store_b32 off, v84, off offset:44
	scratch_store_b32 off, v85, off offset:52
	;; [unrolled: 1-line block ×4, first 2 shown]
	v_mul_f64 v[80:81], v[142:143], v[2:3]
	v_mul_f64 v[2:3], v[140:141], v[2:3]
	v_lshlrev_b32_e32 v121, 5, v85
	v_lshlrev_b32_e32 v122, 5, v86
	v_mul_f64 v[115:116], v[146:147], v[6:7]
	v_mul_f64 v[6:7], v[144:145], v[6:7]
	v_add3_u32 v85, 0, v117, v135
	v_add3_u32 v86, 0, v119, v83
	;; [unrolled: 1-line block ×3, first 2 shown]
	s_waitcnt lgkmcnt(0)
	v_mul_f64 v[119:120], v[133:134], v[18:19]
	v_mul_f64 v[18:19], v[131:132], v[18:19]
	;; [unrolled: 1-line block ×4, first 2 shown]
	ds_load_b128 v[160:163], v114 offset:16848
	ds_load_b128 v[164:167], v114 offset:29808
	;; [unrolled: 1-line block ×14, first 2 shown]
	v_lshlrev_b32_e32 v129, 5, v84
	v_add3_u32 v84, 0, v118, v82
	v_mul_f64 v[117:118], v[150:151], v[10:11]
	v_mul_f64 v[10:11], v[148:149], v[10:11]
	v_add3_u32 v82, 0, v230, v232
	v_add3_u32 v83, 0, v231, v233
	v_lshlrev_b32_e32 v123, 5, v123
	s_waitcnt lgkmcnt(13)
	v_mul_f64 v[218:219], v[162:163], v[70:71]
	v_mul_f64 v[70:71], v[160:161], v[70:71]
	s_waitcnt lgkmcnt(8)
	v_mul_f64 v[220:221], v[180:181], v[34:35]
	s_waitcnt lgkmcnt(1)
	v_mul_f64 v[66:67], v[210:211], v[54:55]
	v_mul_f64 v[54:55], v[208:209], v[54:55]
	;; [unrolled: 1-line block ×3, first 2 shown]
	v_fma_f64 v[80:81], v[140:141], v[0:1], -v[80:81]
	v_fma_f64 v[140:141], v[142:143], v[0:1], v[2:3]
	v_mul_f64 v[0:1], v[166:167], v[46:47]
	v_mul_f64 v[2:3], v[164:165], v[46:47]
	;; [unrolled: 1-line block ×4, first 2 shown]
	v_fma_f64 v[115:116], v[144:145], v[4:5], -v[115:116]
	v_fma_f64 v[142:143], v[146:147], v[4:5], v[6:7]
	v_mul_f64 v[144:145], v[178:179], v[26:27]
	v_mul_f64 v[146:147], v[174:175], v[38:39]
	;; [unrolled: 1-line block ×3, first 2 shown]
	v_fma_f64 v[119:120], v[131:132], v[16:17], -v[119:120]
	v_fma_f64 v[130:131], v[133:134], v[16:17], v[18:19]
	v_fma_f64 v[134:135], v[152:153], v[20:21], -v[135:136]
	v_fma_f64 v[136:137], v[154:155], v[20:21], v[22:23]
	v_mul_f64 v[152:153], v[198:199], v[62:63]
	v_mul_f64 v[62:63], v[196:197], v[62:63]
	;; [unrolled: 1-line block ×5, first 2 shown]
	v_fma_f64 v[117:118], v[148:149], v[8:9], -v[117:118]
	v_fma_f64 v[148:149], v[150:151], v[8:9], v[10:11]
	v_mul_f64 v[150:151], v[182:183], v[34:35]
	v_mul_f64 v[224:225], v[184:185], v[14:15]
	;; [unrolled: 1-line block ×8, first 2 shown]
	v_fma_f64 v[160:161], v[160:161], v[68:69], -v[218:219]
	v_fma_f64 v[68:69], v[162:163], v[68:69], v[70:71]
	s_waitcnt lgkmcnt(0)
	v_mul_f64 v[70:71], v[214:215], v[78:79]
	v_mul_f64 v[78:79], v[212:213], v[78:79]
	v_fma_f64 v[162:163], v[164:165], v[44:45], -v[0:1]
	v_fma_f64 v[164:165], v[166:167], v[44:45], v[2:3]
	v_fma_f64 v[46:47], v[168:169], v[28:29], -v[46:47]
	v_fma_f64 v[166:167], v[170:171], v[28:29], v[30:31]
	v_fma_f64 v[170:171], v[182:183], v[32:33], v[220:221]
	ds_load_b128 v[0:3], v114
	ds_load_b128 v[4:7], v114 offset:1296
	v_fma_f64 v[144:145], v[176:177], v[24:25], -v[144:145]
	ds_load_b128 v[8:11], v114 offset:2592
	ds_load_b128 v[14:17], v114 offset:3888
	v_fma_f64 v[38:39], v[174:175], v[36:37], v[38:39]
	v_fma_f64 v[146:147], v[172:173], v[36:37], -v[146:147]
	v_fma_f64 v[172:173], v[184:185], v[12:13], -v[222:223]
	v_add_f64 v[182:183], v[136:137], v[64:65]
	v_fma_f64 v[152:153], v[196:197], v[60:61], -v[152:153]
	v_fma_f64 v[60:61], v[198:199], v[60:61], v[62:63]
	v_fma_f64 v[62:63], v[200:201], v[56:57], -v[154:155]
	v_fma_f64 v[56:57], v[202:203], v[56:57], v[58:59]
	;; [unrolled: 2-line block ×3, first 2 shown]
	v_fma_f64 v[168:169], v[178:179], v[24:25], v[26:27]
	v_fma_f64 v[150:151], v[180:181], v[32:33], -v[150:151]
	v_fma_f64 v[12:13], v[186:187], v[12:13], v[224:225]
	v_fma_f64 v[132:133], v[192:193], v[48:49], -v[132:133]
	;; [unrolled: 2-line block ×4, first 2 shown]
	v_fma_f64 v[66:67], v[206:207], v[72:73], v[74:75]
	v_add_f64 v[74:75], v[80:81], v[115:116]
	s_waitcnt lgkmcnt(3)
	v_add_f64 v[154:155], v[0:1], v[80:81]
	v_add_f64 v[158:159], v[117:118], v[119:120]
	v_add_f64 v[174:175], v[148:149], v[130:131]
	v_fma_f64 v[70:71], v[212:213], v[76:77], -v[70:71]
	v_fma_f64 v[72:73], v[214:215], v[76:77], v[78:79]
	v_add_f64 v[76:77], v[140:141], v[142:143]
	v_add_f64 v[78:79], v[2:3], v[140:141]
	s_waitcnt lgkmcnt(2)
	v_add_f64 v[176:177], v[6:7], v[148:149]
	v_add_f64 v[178:179], v[4:5], v[117:118]
	v_add_f64 v[180:181], v[134:135], v[156:157]
	s_waitcnt lgkmcnt(1)
	v_add_f64 v[186:187], v[8:9], v[134:135]
	;; [unrolled: 4-line block ×3, first 2 shown]
	ds_load_b128 v[18:21], v114 offset:5184
	ds_load_b128 v[22:25], v114 offset:6480
	v_add_f64 v[192:193], v[46:47], v[144:145]
	ds_load_b128 v[26:29], v114 offset:7776
	ds_load_b128 v[34:37], v114 offset:9072
	v_add_f64 v[206:207], v[38:39], v[170:171]
	ds_load_b128 v[30:33], v114 offset:10368
	ds_load_b128 v[42:45], v114 offset:11664
	v_add_f64 v[140:141], v[140:141], -v[142:143]
	v_add_f64 v[80:81], v[80:81], -v[115:116]
	v_add_f64 v[184:185], v[10:11], v[136:137]
	v_add_f64 v[148:149], v[148:149], -v[130:131]
	v_add_f64 v[117:118], v[117:118], -v[119:120]
	;; [unrolled: 1-line block ×4, first 2 shown]
	v_add_f64 v[196:197], v[16:17], v[68:69]
	v_add_f64 v[230:231], v[56:57], v[52:53]
	;; [unrolled: 1-line block ×3, first 2 shown]
	v_add_f64 v[68:69], v[68:69], -v[164:165]
	v_add_f64 v[204:205], v[146:147], v[150:151]
	v_add_f64 v[228:229], v[62:63], v[58:59]
	;; [unrolled: 1-line block ×3, first 2 shown]
	s_waitcnt lgkmcnt(5)
	v_add_f64 v[200:201], v[20:21], v[166:167]
	v_add_f64 v[202:203], v[18:19], v[46:47]
	s_waitcnt lgkmcnt(4)
	v_add_f64 v[208:209], v[24:25], v[38:39]
	v_add_f64 v[210:211], v[22:23], v[146:147]
	;; [unrolled: 3-line block ×3, first 2 shown]
	s_waitcnt lgkmcnt(2)
	v_add_f64 v[224:225], v[36:37], v[40:41]
	s_waitcnt lgkmcnt(1)
	v_add_f64 v[232:233], v[32:33], v[56:57]
	v_fma_f64 v[74:75], v[74:75], -0.5, v[0:1]
	v_add_f64 v[234:235], v[30:31], v[62:63]
	v_fma_f64 v[76:77], v[76:77], -0.5, v[2:3]
	v_add_f64 v[236:237], v[54:55], v[70:71]
	v_add_f64 v[2:3], v[78:79], v[142:143]
	;; [unrolled: 1-line block ×4, first 2 shown]
	s_waitcnt lgkmcnt(0)
	v_add_f64 v[115:116], v[44:45], v[66:67]
	v_fma_f64 v[142:143], v[158:159], -0.5, v[4:5]
	v_fma_f64 v[154:155], v[174:175], -0.5, v[6:7]
	v_add_f64 v[158:159], v[42:43], v[54:55]
	v_add_f64 v[160:161], v[160:161], -v[162:163]
	v_add_f64 v[166:167], v[166:167], -v[168:169]
	;; [unrolled: 1-line block ×6, first 2 shown]
	v_add_f64 v[6:7], v[176:177], v[130:131]
	v_add_f64 v[4:5], v[178:179], v[119:120]
	v_fma_f64 v[62:63], v[180:181], -0.5, v[8:9]
	v_fma_f64 v[66:67], v[182:183], -0.5, v[10:11]
	v_add_f64 v[8:9], v[186:187], v[156:157]
	v_fma_f64 v[119:120], v[188:189], -0.5, v[14:15]
	v_fma_f64 v[130:131], v[190:191], -0.5, v[16:17]
	;; [unrolled: 1-line block ×3, first 2 shown]
	v_add_f64 v[12:13], v[198:199], v[162:163]
	v_fma_f64 v[162:163], v[206:207], -0.5, v[24:25]
	v_fma_f64 v[32:33], v[230:231], -0.5, v[32:33]
	v_add_f64 v[220:221], v[50:51], v[152:153]
	v_add_f64 v[226:227], v[34:35], v[50:51]
	v_add_f64 v[174:175], v[46:47], -v[144:145]
	v_add_f64 v[238:239], v[38:39], -v[170:171]
	;; [unrolled: 1-line block ×5, first 2 shown]
	v_add_f64 v[10:11], v[184:185], v[64:65]
	v_add_f64 v[14:15], v[196:197], v[164:165]
	;; [unrolled: 1-line block ×3, first 2 shown]
	v_fma_f64 v[144:145], v[204:205], -0.5, v[22:23]
	v_add_f64 v[22:23], v[208:209], v[170:171]
	v_fma_f64 v[164:165], v[214:215], -0.5, v[28:29]
	v_fma_f64 v[170:171], v[222:223], -0.5, v[36:37]
	v_add_f64 v[36:37], v[224:225], v[60:61]
	v_add_f64 v[28:29], v[234:235], v[58:59]
	v_fma_f64 v[180:181], v[236:237], -0.5, v[42:43]
	v_add_f64 v[40:41], v[115:116], v[72:73]
	v_fma_f64 v[42:43], v[140:141], s[4:5], v[74:75]
	v_fma_f64 v[46:47], v[140:141], s[10:11], v[74:75]
	v_add_f64 v[38:39], v[158:159], v[70:71]
	v_fma_f64 v[50:51], v[148:149], s[4:5], v[142:143]
	v_fma_f64 v[54:55], v[148:149], s[10:11], v[142:143]
	v_add_f64 v[212:213], v[172:173], v[132:133]
	v_fma_f64 v[176:177], v[194:195], -0.5, v[20:21]
	v_add_f64 v[218:219], v[26:27], v[172:173]
	v_add_f64 v[172:173], v[172:173], -v[132:133]
	v_add_f64 v[20:21], v[210:211], v[150:151]
	v_add_f64 v[18:19], v[200:201], v[168:169]
	v_fma_f64 v[58:59], v[136:137], s[4:5], v[62:63]
	v_fma_f64 v[62:63], v[136:137], s[10:11], v[62:63]
	;; [unrolled: 1-line block ×14, first 2 shown]
	scratch_load_b32 v32, off, off offset:80 ; 4-byte Folded Reload
	v_fma_f64 v[168:169], v[220:221], -0.5, v[34:35]
	v_add_f64 v[246:247], v[56:57], -v[52:53]
	v_fma_f64 v[178:179], v[228:229], -0.5, v[30:31]
	v_fma_f64 v[78:79], v[78:79], -0.5, v[44:45]
	v_fma_f64 v[44:45], v[80:81], s[10:11], v[76:77]
	v_add_f64 v[30:31], v[232:233], v[52:53]
	v_fma_f64 v[52:53], v[117:118], s[10:11], v[154:155]
	v_fma_f64 v[56:57], v[117:118], s[4:5], v[154:155]
	;; [unrolled: 1-line block ×4, first 2 shown]
	v_add_f64 v[34:35], v[226:227], v[152:153]
	v_fma_f64 v[154:155], v[244:245], s[10:11], v[170:171]
	v_fma_f64 v[158:159], v[244:245], s[4:5], v[170:171]
	v_add_co_u32 v33, s0, s8, v129
	s_waitcnt vmcnt(0)
	s_waitcnt_vscnt null, 0x0
	s_barrier
	v_fma_f64 v[150:151], v[212:213], -0.5, v[26:27]
	v_add_f64 v[26:27], v[216:217], v[48:49]
	v_fma_f64 v[48:49], v[80:81], s[4:5], v[76:77]
	v_fma_f64 v[76:77], v[174:175], s[10:11], v[176:177]
	v_add_f64 v[24:25], v[218:219], v[132:133]
	v_fma_f64 v[132:133], v[174:175], s[4:5], v[176:177]
	v_fma_f64 v[146:147], v[172:173], s[10:11], v[164:165]
	buffer_gl0_inv
	v_fma_f64 v[152:153], v[242:243], s[4:5], v[168:169]
	v_fma_f64 v[156:157], v[242:243], s[10:11], v[168:169]
	;; [unrolled: 1-line block ×6, first 2 shown]
	v_add_co_ci_u32_e64 v78, null, s9, 0, s0
	v_fma_f64 v[144:145], v[240:241], s[4:5], v[150:151]
	v_fma_f64 v[148:149], v[240:241], s[10:11], v[150:151]
	;; [unrolled: 1-line block ×5, first 2 shown]
	v_add3_u32 v32, 0, v32, v254
	ds_store_b128 v114, v[0:3]
	ds_store_b128 v114, v[42:45] offset:1440
	ds_store_b128 v114, v[46:49] offset:2880
	ds_store_b128 v124, v[4:7]
	ds_store_b128 v124, v[50:53] offset:1440
	ds_store_b128 v124, v[54:57] offset:2880
	;; [unrolled: 3-line block ×9, first 2 shown]
	ds_store_b128 v255, v[38:41] offset:34560
	ds_store_b128 v255, v[168:171] offset:36000
	;; [unrolled: 1-line block ×3, first 2 shown]
	v_add_co_u32 v12, s0, s8, v121
	s_delay_alu instid0(VALU_DEP_1) | instskip(SKIP_1) | instid1(VALU_DEP_1)
	v_add_co_ci_u32_e64 v13, null, s9, 0, s0
	v_add_co_u32 v40, s0, s8, v122
	v_add_co_ci_u32_e64 v41, null, s9, 0, s0
	v_add_co_u32 v62, s0, s8, v123
	s_delay_alu instid0(VALU_DEP_1) | instskip(SKIP_1) | instid1(VALU_DEP_1)
	v_add_co_ci_u32_e64 v63, null, s9, 0, s0
	v_add_co_u32 v24, s0, 0x1000, v33
	v_add_co_ci_u32_e64 v25, s0, 0, v78, s0
	v_add_co_u32 v26, s0, 0x1040, v33
	s_delay_alu instid0(VALU_DEP_1) | instskip(SKIP_1) | instid1(VALU_DEP_1)
	v_add_co_ci_u32_e64 v27, s0, 0, v78, s0
	v_add_co_u32 v28, s0, 0x1000, v12
	v_add_co_ci_u32_e64 v29, s0, 0, v13, s0
	v_add_co_u32 v30, s0, 0x1040, v12
	s_delay_alu instid0(VALU_DEP_1) | instskip(SKIP_1) | instid1(VALU_DEP_1)
	v_add_co_ci_u32_e64 v31, s0, 0, v13, s0
	v_add_co_u32 v44, s0, 0x1000, v40
	v_add_co_ci_u32_e64 v45, s0, 0, v41, s0
	v_add_co_u32 v46, s0, 0x1040, v40
	s_delay_alu instid0(VALU_DEP_1) | instskip(SKIP_1) | instid1(VALU_DEP_1)
	v_add_co_ci_u32_e64 v47, s0, 0, v41, s0
	v_add_co_u32 v60, s0, 0x1000, v62
	v_add_co_ci_u32_e64 v61, s0, 0, v63, s0
	v_add_co_u32 v72, s0, 0x1040, v62
	s_delay_alu instid0(VALU_DEP_1)
	v_add_co_ci_u32_e64 v73, s0, 0, v63, s0
	s_waitcnt lgkmcnt(0)
	s_barrier
	buffer_gl0_inv
	s_clause 0x13
	global_load_b128 v[48:51], v[90:91], off offset:64
	global_load_b128 v[20:23], v[92:93], off offset:16
	;; [unrolled: 1-line block ×20, first 2 shown]
	s_clause 0x2
	scratch_load_b64 v[220:221], off, off offset:20
	scratch_load_b32 v80, off, off offset:28
	scratch_load_b32 v82, off, off offset:68
	v_cmp_lt_u32_e64 s0, 26, v138
	v_lshlrev_b32_e32 v91, 4, v139
	ds_load_b128 v[120:123], v114 offset:12960
	s_clause 0x1
	scratch_load_b32 v85, off, off offset:48
	scratch_load_b32 v86, off, off offset:32
	v_cndmask_b32_e64 v90, 0, 0x32a0, s0
	v_add_co_u32 v118, s0, 0x3000, v88
	s_delay_alu instid0(VALU_DEP_1) | instskip(NEXT) | instid1(VALU_DEP_3)
	v_add_co_ci_u32_e64 v119, s0, 0, v89, s0
	v_add3_u32 v117, 0, v90, v91
	ds_load_b128 v[132:135], v114 offset:27216
	s_waitcnt vmcnt(21) lgkmcnt(0)
	v_mul_f64 v[216:217], v[134:135], v[2:3]
	v_mul_f64 v[2:3], v[132:133], v[2:3]
	s_waitcnt vmcnt(3)
	v_lshlrev_b32_e32 v220, 1, v80
	s_delay_alu instid0(VALU_DEP_1) | instskip(SKIP_3) | instid1(VALU_DEP_1)
	v_lshlrev_b64 v[80:81], 4, v[220:221]
	s_waitcnt vmcnt(2)
	v_lshlrev_b32_e32 v220, 1, v82
	v_add_co_u32 v82, s0, 0x3200, v88
	v_add_co_ci_u32_e64 v83, s0, 0, v89, s0
	v_add_co_u32 v96, s0, 0x3000, v127
	s_delay_alu instid0(VALU_DEP_1)
	v_add_co_ci_u32_e64 v97, s0, 0, v128, s0
	scratch_store_b64 off, v[82:83], off offset:20 ; 8-byte Folded Spill
	s_clause 0x1
	scratch_load_b32 v82, off, off offset:40
	scratch_load_b32 v83, off, off offset:36
	v_add_co_u32 v98, s0, 0x3200, v127
	s_delay_alu instid0(VALU_DEP_1) | instskip(SKIP_1) | instid1(VALU_DEP_1)
	v_add_co_ci_u32_e64 v99, s0, 0, v128, s0
	v_add_co_u32 v115, s0, 0x3000, v125
	v_add_co_ci_u32_e64 v116, s0, 0, v126, s0
	v_add_co_u32 v94, s0, 0x3200, v125
	s_delay_alu instid0(VALU_DEP_1)
	v_add_co_ci_u32_e64 v95, s0, 0, v126, s0
	v_lshlrev_b64 v[104:105], 4, v[220:221]
	ds_load_b128 v[124:127], v114 offset:25920
	ds_load_b128 v[128:131], v114 offset:14256
	v_fma_f64 v[132:133], v[132:133], v[0:1], -v[216:217]
	v_fma_f64 v[134:135], v[134:135], v[0:1], v[2:3]
	s_waitcnt lgkmcnt(1)
	v_mul_f64 v[212:213], v[126:127], v[22:23]
	v_mul_f64 v[22:23], v[124:125], v[22:23]
	s_waitcnt lgkmcnt(0)
	v_mul_f64 v[214:215], v[130:131], v[6:7]
	v_mul_f64 v[6:7], v[128:129], v[6:7]
	s_delay_alu instid0(VALU_DEP_4) | instskip(NEXT) | instid1(VALU_DEP_4)
	v_fma_f64 v[124:125], v[124:125], v[20:21], -v[212:213]
	v_fma_f64 v[22:23], v[126:127], v[20:21], v[22:23]
	s_delay_alu instid0(VALU_DEP_4) | instskip(NEXT) | instid1(VALU_DEP_4)
	v_fma_f64 v[128:129], v[128:129], v[4:5], -v[214:215]
	v_fma_f64 v[130:131], v[130:131], v[4:5], v[6:7]
	s_waitcnt vmcnt(1)
	v_mul_u32_u24_e32 v82, 0x32a0, v82
	s_waitcnt vmcnt(0)
	v_lshlrev_b32_e32 v220, 1, v83
	v_add_co_u32 v83, s0, s8, v80
	s_delay_alu instid0(VALU_DEP_1) | instskip(NEXT) | instid1(VALU_DEP_3)
	v_add_co_ci_u32_e64 v84, s0, s9, v81, s0
	v_lshlrev_b64 v[80:81], 4, v[220:221]
	s_delay_alu instid0(VALU_DEP_3) | instskip(NEXT) | instid1(VALU_DEP_1)
	v_add_co_u32 v100, s0, 0x3000, v83
	v_add_co_ci_u32_e64 v101, s0, 0, v84, s0
	v_add_co_u32 v102, s0, 0x3200, v83
	s_delay_alu instid0(VALU_DEP_1) | instskip(SKIP_1) | instid1(VALU_DEP_1)
	v_add_co_ci_u32_e64 v103, s0, 0, v84, s0
	v_add_co_u32 v83, s0, s8, v104
	v_add_co_ci_u32_e64 v84, s0, s9, v105, s0
	v_lshlrev_b32_e32 v220, 1, v85
	s_delay_alu instid0(VALU_DEP_3) | instskip(NEXT) | instid1(VALU_DEP_1)
	v_add_co_u32 v104, s0, 0x3000, v83
	v_add_co_ci_u32_e64 v105, s0, 0, v84, s0
	v_add_co_u32 v106, s0, 0x3200, v83
	s_delay_alu instid0(VALU_DEP_1)
	v_add_co_ci_u32_e64 v107, s0, 0, v84, s0
	scratch_load_b32 v85, off, off offset:56 ; 4-byte Folded Reload
	v_add_co_u32 v83, s0, s8, v80
	scratch_load_b32 v80, off, off offset:44 ; 4-byte Folded Reload
	v_lshlrev_b64 v[112:113], 4, v[220:221]
	v_add_co_ci_u32_e64 v84, s0, s9, v81, s0
	v_add_co_u32 v108, s0, 0x3000, v83
	s_delay_alu instid0(VALU_DEP_1) | instskip(SKIP_1) | instid1(VALU_DEP_1)
	v_add_co_ci_u32_e64 v109, s0, 0, v84, s0
	v_add_co_u32 v110, s0, 0x3200, v83
	v_add_co_ci_u32_e64 v111, s0, 0, v84, s0
	v_add_co_u32 v83, s0, s8, v112
	s_delay_alu instid0(VALU_DEP_1) | instskip(NEXT) | instid1(VALU_DEP_2)
	v_add_co_ci_u32_e64 v84, s0, s9, v113, s0
	v_add_co_u32 v208, s0, 0x3000, v83
	s_delay_alu instid0(VALU_DEP_1) | instskip(SKIP_1) | instid1(VALU_DEP_1)
	v_add_co_ci_u32_e64 v209, s0, 0, v84, s0
	v_add_co_u32 v210, s0, 0x3200, v83
	v_add_co_ci_u32_e64 v211, s0, 0, v84, s0
	s_waitcnt vmcnt(1)
	v_lshlrev_b32_e32 v220, 1, v85
	s_waitcnt vmcnt(0)
	v_lshlrev_b32_e32 v85, 4, v80
	scratch_load_b32 v80, off, off offset:52 ; 4-byte Folded Reload
	v_add3_u32 v93, 0, v82, v85
	scratch_load_b32 v82, off, off offset:16 ; 4-byte Folded Reload
	s_waitcnt vmcnt(1)
	v_lshl_add_u32 v80, v80, 4, 0
	scratch_store_b32 off, v80, off offset:36 ; 4-byte Folded Spill
	scratch_load_b32 v80, off, off offset:72 ; 4-byte Folded Reload
	s_waitcnt vmcnt(0)
	v_lshl_add_u32 v91, v80, 4, 0
	scratch_load_b32 v80, off, off offset:76 ; 4-byte Folded Reload
	s_waitcnt vmcnt(0)
	v_lshl_add_u32 v80, v80, 4, 0
	scratch_store_b32 off, v80, off offset:28 ; 4-byte Folded Spill
	v_lshlrev_b64 v[80:81], 4, v[220:221]
	ds_load_b128 v[136:139], v114 offset:15552
	ds_load_b128 v[140:143], v114 offset:16848
	;; [unrolled: 1-line block ×12, first 2 shown]
	v_lshlrev_b32_e32 v220, 1, v86
	ds_load_b128 v[184:187], v114 offset:23328
	ds_load_b128 v[188:191], v114 offset:24624
	;; [unrolled: 1-line block ×4, first 2 shown]
	v_add_co_u32 v90, s0, s8, v80
	s_delay_alu instid0(VALU_DEP_1)
	v_add_co_ci_u32_e64 v92, s0, s9, v81, s0
	v_mul_f64 v[80:81], v[122:123], v[50:51]
	v_mul_f64 v[50:51], v[120:121], v[50:51]
	v_lshlrev_b64 v[112:113], 4, v[220:221]
	v_lshlrev_b32_e32 v220, 1, v82
	ds_load_b128 v[200:203], v114
	ds_load_b128 v[204:207], v114 offset:1296
	ds_load_b128 v[0:3], v114 offset:2592
	;; [unrolled: 1-line block ×3, first 2 shown]
	s_waitcnt lgkmcnt(19)
	v_mul_f64 v[218:219], v[138:139], v[78:79]
	v_mul_f64 v[78:79], v[136:137], v[78:79]
	s_waitcnt lgkmcnt(17)
	v_mul_f64 v[82:83], v[146:147], v[66:67]
	v_mul_f64 v[66:67], v[144:145], v[66:67]
	;; [unrolled: 1-line block ×4, first 2 shown]
	s_waitcnt lgkmcnt(16)
	v_mul_f64 v[224:225], v[150:151], v[58:59]
	v_mul_f64 v[58:59], v[148:149], v[58:59]
	s_waitcnt lgkmcnt(15)
	v_mul_f64 v[226:227], v[154:155], v[34:35]
	v_mul_f64 v[34:35], v[152:153], v[34:35]
	;; [unrolled: 3-line block ×3, first 2 shown]
	v_mul_f64 v[230:231], v[158:159], v[18:19]
	s_waitcnt lgkmcnt(11)
	v_mul_f64 v[232:233], v[170:171], v[38:39]
	v_mul_f64 v[38:39], v[168:169], v[38:39]
	s_waitcnt lgkmcnt(9)
	v_mul_f64 v[126:127], v[178:179], v[26:27]
	;; [unrolled: 3-line block ×3, first 2 shown]
	v_mul_f64 v[212:213], v[174:175], v[42:43]
	v_mul_f64 v[42:43], v[172:173], v[42:43]
	v_mul_f64 v[236:237], v[186:187], v[54:55]
	v_mul_f64 v[216:217], v[184:185], v[54:55]
	s_waitcnt lgkmcnt(5)
	v_mul_f64 v[238:239], v[194:195], v[46:47]
	v_mul_f64 v[214:215], v[182:183], v[30:31]
	;; [unrolled: 1-line block ×4, first 2 shown]
	v_fma_f64 v[80:81], v[120:121], v[48:49], -v[80:81]
	v_fma_f64 v[50:51], v[122:123], v[48:49], v[50:51]
	v_mul_f64 v[120:121], v[156:157], v[18:19]
	v_mul_f64 v[122:123], v[166:167], v[14:15]
	;; [unrolled: 1-line block ×3, first 2 shown]
	ds_load_b128 v[18:21], v114 offset:5184
	ds_load_b128 v[46:49], v114 offset:6480
	v_fma_f64 v[136:137], v[136:137], v[76:77], -v[218:219]
	v_fma_f64 v[76:77], v[138:139], v[76:77], v[78:79]
	v_mul_f64 v[78:79], v[188:189], v[62:63]
	s_waitcnt lgkmcnt(6)
	v_mul_f64 v[138:139], v[198:199], v[74:75]
	v_mul_f64 v[74:75], v[196:197], v[74:75]
	v_fma_f64 v[144:145], v[144:145], v[64:65], -v[82:83]
	v_fma_f64 v[146:147], v[146:147], v[64:65], v[66:67]
	v_fma_f64 v[140:141], v[140:141], v[68:69], -v[222:223]
	v_fma_f64 v[70:71], v[142:143], v[68:69], v[70:71]
	;; [unrolled: 2-line block ×5, first 2 shown]
	v_fma_f64 v[8:9], v[156:157], v[16:17], -v[230:231]
	v_add_f64 v[160:161], v[130:131], v[134:135]
	s_waitcnt lgkmcnt(4)
	v_add_f64 v[162:163], v[206:207], v[130:131]
	ds_load_b128 v[54:57], v114 offset:7776
	ds_load_b128 v[62:65], v114 offset:9072
	ds_load_b128 v[30:33], v114 offset:10368
	ds_load_b128 v[66:69], v114 offset:11664
	v_add_f64 v[130:131], v[130:131], -v[134:135]
	s_waitcnt lgkmcnt(0)
	s_waitcnt_vscnt null, 0x0
	s_barrier
	buffer_gl0_inv
	v_add_f64 v[156:157], v[200:201], v[80:81]
	v_add_f64 v[154:155], v[202:203], v[50:51]
	v_fma_f64 v[10:11], v[158:159], v[16:17], v[120:121]
	v_fma_f64 v[120:121], v[164:165], v[12:13], -v[122:123]
	v_fma_f64 v[122:123], v[166:167], v[12:13], v[14:15]
	v_fma_f64 v[12:13], v[168:169], v[36:37], -v[232:233]
	;; [unrolled: 2-line block ×5, first 2 shown]
	v_fma_f64 v[72:73], v[198:199], v[72:73], v[74:75]
	v_add_f64 v[74:75], v[80:81], v[124:125]
	v_add_f64 v[138:139], v[50:51], v[22:23]
	v_add_f64 v[158:159], v[128:129], v[132:133]
	v_fma_f64 v[16:17], v[172:173], v[40:41], -v[212:213]
	v_fma_f64 v[26:27], v[174:175], v[40:41], v[42:43]
	v_fma_f64 v[40:41], v[184:185], v[52:53], -v[236:237]
	v_fma_f64 v[42:43], v[186:187], v[52:53], v[216:217]
	v_fma_f64 v[52:53], v[192:193], v[44:45], -v[238:239]
	v_add_f64 v[164:165], v[204:205], v[128:129]
	v_add_f64 v[166:167], v[136:137], v[144:145]
	;; [unrolled: 1-line block ×3, first 2 shown]
	v_fma_f64 v[38:39], v[180:181], v[28:29], -v[214:215]
	v_fma_f64 v[28:29], v[182:183], v[28:29], v[234:235]
	v_add_f64 v[172:173], v[0:1], v[136:137]
	v_add_f64 v[174:175], v[140:141], v[142:143]
	;; [unrolled: 1-line block ×7, first 2 shown]
	v_add_f64 v[88:89], v[50:51], -v[22:23]
	v_add_f64 v[186:187], v[20:21], v[34:35]
	v_add_f64 v[188:189], v[18:19], v[148:149]
	v_add_f64 v[80:81], v[80:81], -v[124:125]
	v_add_f64 v[128:129], v[128:129], -v[132:133]
	v_add_f64 v[196:197], v[46:47], v[8:9]
	v_fma_f64 v[44:45], v[194:195], v[44:45], v[240:241]
	v_add_f64 v[190:191], v[34:35], -v[152:153]
	v_add_f64 v[50:51], v[8:9], v[120:121]
	v_add_f64 v[192:193], v[10:11], v[122:123]
	v_add_f64 v[212:213], v[8:9], -v[120:121]
	v_add_f64 v[8:9], v[156:157], v[124:125]
	v_add_f64 v[214:215], v[12:13], v[36:37]
	;; [unrolled: 1-line block ×7, first 2 shown]
	v_add_f64 v[84:85], v[60:61], -v[72:73]
	v_fma_f64 v[60:61], v[74:75], -0.5, v[200:201]
	v_fma_f64 v[74:75], v[138:139], -0.5, v[202:203]
	v_add_f64 v[82:83], v[126:127], -v[78:79]
	v_fma_f64 v[124:125], v[158:159], -0.5, v[204:205]
	v_fma_f64 v[126:127], v[160:161], -0.5, v[206:207]
	v_add_f64 v[242:243], v[32:33], v[42:43]
	v_add_f64 v[238:239], v[40:41], v[52:53]
	;; [unrolled: 1-line block ×6, first 2 shown]
	v_add_f64 v[76:77], v[76:77], -v[146:147]
	v_add_f64 v[136:137], v[136:137], -v[144:145]
	v_add_f64 v[178:179], v[6:7], v[70:71]
	v_add_f64 v[222:223], v[14:15], -v[24:25]
	v_add_f64 v[224:225], v[12:13], -v[36:37]
	v_add_f64 v[14:15], v[162:163], v[134:135]
	v_add_f64 v[12:13], v[164:165], v[132:133]
	v_fma_f64 v[132:133], v[166:167], -0.5, v[0:1]
	v_fma_f64 v[134:135], v[168:169], -0.5, v[2:3]
	v_add_f64 v[226:227], v[16:17], v[38:39]
	v_add_f64 v[228:229], v[26:27], v[28:29]
	v_add_f64 v[70:71], v[70:71], -v[58:59]
	v_add_f64 v[140:141], v[140:141], -v[142:143]
	v_add_f64 v[0:1], v[172:173], v[144:145]
	v_fma_f64 v[138:139], v[174:175], -0.5, v[4:5]
	v_fma_f64 v[144:145], v[176:177], -0.5, v[6:7]
	v_add_f64 v[194:195], v[48:49], v[10:11]
	v_add_f64 v[148:149], v[148:149], -v[150:151]
	v_add_f64 v[2:3], v[170:171], v[146:147]
	v_add_f64 v[4:5], v[180:181], v[142:143]
	v_fma_f64 v[142:143], v[182:183], -0.5, v[18:19]
	v_fma_f64 v[146:147], v[184:185], -0.5, v[20:21]
	v_add_f64 v[198:199], v[10:11], -v[122:123]
	v_add_f64 v[232:233], v[62:63], v[16:17]
	v_add_f64 v[236:237], v[16:17], -v[38:39]
	v_add_f64 v[18:19], v[186:187], v[152:153]
	v_add_f64 v[16:17], v[188:189], v[150:151]
	v_fma_f64 v[150:151], v[50:51], -0.5, v[46:47]
	v_fma_f64 v[152:153], v[192:193], -0.5, v[48:49]
	v_add_f64 v[10:11], v[154:155], v[22:23]
	v_fma_f64 v[154:155], v[214:215], -0.5, v[54:55]
	v_fma_f64 v[156:157], v[216:217], -0.5, v[56:57]
	v_fma_f64 v[46:47], v[88:89], s[10:11], v[60:61]
	v_fma_f64 v[48:49], v[80:81], s[4:5], v[74:75]
	;; [unrolled: 1-line block ×4, first 2 shown]
	v_add_f64 v[240:241], v[42:43], v[44:45]
	v_add_f64 v[254:255], v[42:43], -v[44:45]
	v_fma_f64 v[162:163], v[238:239], -0.5, v[30:31]
	v_add_f64 v[30:31], v[242:243], v[44:45]
	v_fma_f64 v[42:43], v[88:89], s[4:5], v[60:61]
	v_fma_f64 v[44:45], v[80:81], s[10:11], v[74:75]
	v_add_f64 v[234:235], v[26:27], -v[28:29]
	v_add_f64 v[86:87], v[40:41], -v[52:53]
	v_add_f64 v[26:27], v[218:219], v[24:25]
	v_add_f64 v[24:25], v[34:35], v[36:37]
	v_add_f64 v[36:37], v[230:231], v[28:29]
	v_add_f64 v[28:29], v[244:245], v[52:53]
	v_fma_f64 v[50:51], v[130:131], s[4:5], v[124:125]
	v_fma_f64 v[52:53], v[128:129], s[10:11], v[126:127]
	v_add_f64 v[6:7], v[178:179], v[58:59]
	v_fma_f64 v[58:59], v[76:77], s[4:5], v[132:133]
	v_fma_f64 v[60:61], v[136:137], s[10:11], v[134:135]
	v_fma_f64 v[158:159], v[226:227], -0.5, v[62:63]
	v_fma_f64 v[160:161], v[228:229], -0.5, v[64:65]
	v_fma_f64 v[62:63], v[76:77], s[10:11], v[132:133]
	v_fma_f64 v[64:65], v[136:137], s[4:5], v[134:135]
	v_fma_f64 v[164:165], v[246:247], -0.5, v[66:67]
	v_fma_f64 v[166:167], v[248:249], -0.5, v[68:69]
	v_fma_f64 v[66:67], v[70:71], s[4:5], v[138:139]
	v_fma_f64 v[68:69], v[140:141], s[10:11], v[144:145]
	v_add_f64 v[40:41], v[250:251], v[72:73]
	v_fma_f64 v[70:71], v[70:71], s[10:11], v[138:139]
	v_fma_f64 v[72:73], v[140:141], s[4:5], v[144:145]
	v_add_f64 v[22:23], v[194:195], v[122:123]
	v_add_f64 v[20:21], v[196:197], v[120:121]
	v_fma_f64 v[74:75], v[190:191], s[4:5], v[142:143]
	v_fma_f64 v[76:77], v[148:149], s[10:11], v[146:147]
	;; [unrolled: 1-line block ×12, first 2 shown]
	ds_store_b128 v114, v[8:11]
	ds_store_b128 v114, v[12:15] offset:1296
	ds_store_b128 v114, v[46:49] offset:8640
	;; [unrolled: 1-line block ×8, first 2 shown]
	ds_store_b128 v117, v[4:7]
	ds_store_b128 v117, v[66:69] offset:4320
	ds_store_b128 v117, v[70:73] offset:8640
	;; [unrolled: 1-line block ×8, first 2 shown]
	ds_store_b128 v93, v[24:27]
	ds_store_b128 v93, v[132:135] offset:4320
	ds_store_b128 v93, v[136:139] offset:8640
	scratch_load_b32 v0, off, off offset:36 ; 4-byte Folded Reload
	v_fma_f64 v[32:33], v[240:241], -0.5, v[32:33]
	v_add_f64 v[34:35], v[232:233], v[38:39]
	v_fma_f64 v[144:145], v[234:235], s[10:11], v[158:159]
	v_fma_f64 v[146:147], v[236:237], s[4:5], v[160:161]
	;; [unrolled: 1-line block ×8, first 2 shown]
	v_add_f64 v[38:39], v[252:253], v[78:79]
	v_fma_f64 v[160:161], v[84:85], s[10:11], v[164:165]
	v_fma_f64 v[162:163], v[82:83], s[4:5], v[166:167]
	v_add_co_u32 v80, s0, 0x3000, v90
	s_delay_alu instid0(VALU_DEP_1) | instskip(SKIP_1) | instid1(VALU_DEP_1)
	v_add_co_ci_u32_e64 v81, s0, 0, v92, s0
	v_add_co_u32 v60, s0, 0x3200, v90
	v_add_co_ci_u32_e64 v61, s0, 0, v92, s0
	v_lshlrev_b64 v[78:79], 4, v[220:221]
	v_fma_f64 v[150:151], v[86:87], s[10:11], v[32:33]
	v_fma_f64 v[154:155], v[86:87], s[4:5], v[32:33]
	s_waitcnt vmcnt(0)
	ds_store_b128 v0, v[34:37] offset:25920
	ds_store_b128 v0, v[144:147] offset:34560
	;; [unrolled: 1-line block ×6, first 2 shown]
	scratch_load_b32 v0, off, off offset:28 ; 4-byte Folded Reload
	v_add_co_u32 v32, s0, s8, v112
	s_delay_alu instid0(VALU_DEP_1)
	v_add_co_ci_u32_e64 v33, s0, s9, v113, s0
	s_waitcnt vmcnt(0)
	ds_store_b128 v0, v[156:159] offset:30240
	ds_store_b128 v0, v[38:41] offset:25920
	ds_store_b128 v0, v[160:163] offset:34560
	s_waitcnt lgkmcnt(0)
	s_barrier
	buffer_gl0_inv
	scratch_load_b64 v[4:5], off, off offset:20 ; 8-byte Folded Reload
	global_load_b128 v[0:3], v[118:119], off offset:512
	v_add_co_u32 v64, s0, 0x3000, v32
	s_delay_alu instid0(VALU_DEP_1) | instskip(SKIP_1) | instid1(VALU_DEP_1)
	v_add_co_ci_u32_e64 v65, s0, 0, v33, s0
	v_add_co_u32 v68, s0, 0x3200, v32
	v_add_co_ci_u32_e64 v69, s0, 0, v33, s0
	v_add_co_u32 v74, s0, s8, v78
	s_delay_alu instid0(VALU_DEP_1) | instskip(NEXT) | instid1(VALU_DEP_2)
	v_add_co_ci_u32_e64 v75, s0, s9, v79, s0
	v_add_co_u32 v72, s0, 0x3000, v74
	s_delay_alu instid0(VALU_DEP_1) | instskip(SKIP_1) | instid1(VALU_DEP_1)
	v_add_co_ci_u32_e64 v73, s0, 0, v75, s0
	v_add_co_u32 v76, s0, 0x3200, v74
	v_add_co_ci_u32_e64 v77, s0, 0, v75, s0
	s_waitcnt vmcnt(1)
	s_clause 0x12
	global_load_b128 v[4:7], v[4:5], off offset:16
	global_load_b128 v[8:11], v[96:97], off offset:512
	;; [unrolled: 1-line block ×19, first 2 shown]
	ds_load_b128 v[88:91], v114 offset:12960
	ds_load_b128 v[92:95], v114 offset:14256
	ds_load_b128 v[96:99], v114 offset:25920
	ds_load_b128 v[100:103], v114 offset:27216
	ds_load_b128 v[104:107], v114 offset:15552
	ds_load_b128 v[108:111], v114 offset:16848
	ds_load_b128 v[115:118], v114 offset:28512
	ds_load_b128 v[119:122], v114 offset:29808
	ds_load_b128 v[123:126], v114 offset:18144
	ds_load_b128 v[127:130], v114 offset:19440
	ds_load_b128 v[131:134], v114 offset:31104
	ds_load_b128 v[135:138], v114 offset:32400
	ds_load_b128 v[139:142], v114 offset:20736
	ds_load_b128 v[143:146], v114 offset:22032
	ds_load_b128 v[147:150], v114 offset:33696
	ds_load_b128 v[151:154], v114 offset:34992
	ds_load_b128 v[155:158], v114 offset:23328
	ds_load_b128 v[159:162], v114 offset:24624
	ds_load_b128 v[163:166], v114 offset:36288
	ds_load_b128 v[167:170], v114 offset:37584
	ds_load_b128 v[171:174], v114
	ds_load_b128 v[175:178], v114 offset:1296
	ds_load_b128 v[179:182], v114 offset:2592
	;; [unrolled: 1-line block ×5, first 2 shown]
	s_waitcnt vmcnt(19) lgkmcnt(25)
	v_mul_f64 v[80:81], v[90:91], v[2:3]
	v_mul_f64 v[2:3], v[88:89], v[2:3]
	s_delay_alu instid0(VALU_DEP_2) | instskip(NEXT) | instid1(VALU_DEP_2)
	v_fma_f64 v[80:81], v[88:89], v[0:1], -v[80:81]
	v_fma_f64 v[88:89], v[90:91], v[0:1], v[2:3]
	s_waitcnt vmcnt(15) lgkmcnt(21)
	v_mul_f64 v[112:113], v[106:107], v[18:19]
	v_mul_f64 v[82:83], v[98:99], v[6:7]
	;; [unrolled: 1-line block ×8, first 2 shown]
	s_waitcnt vmcnt(14) lgkmcnt(19)
	v_mul_f64 v[195:196], v[117:118], v[22:23]
	v_mul_f64 v[22:23], v[115:116], v[22:23]
	s_waitcnt vmcnt(13)
	v_mul_f64 v[197:198], v[110:111], v[26:27]
	v_mul_f64 v[26:27], v[108:109], v[26:27]
	s_waitcnt vmcnt(12) lgkmcnt(18)
	v_mul_f64 v[199:200], v[121:122], v[30:31]
	v_mul_f64 v[30:31], v[119:120], v[30:31]
	s_waitcnt vmcnt(11) lgkmcnt(17)
	v_mul_f64 v[201:202], v[125:126], v[34:35]
	v_mul_f64 v[34:35], v[123:124], v[34:35]
	s_waitcnt vmcnt(10) lgkmcnt(15)
	v_mul_f64 v[203:204], v[133:134], v[38:39]
	v_mul_f64 v[38:39], v[131:132], v[38:39]
	s_waitcnt vmcnt(9)
	v_mul_f64 v[205:206], v[129:130], v[42:43]
	v_mul_f64 v[42:43], v[127:128], v[42:43]
	s_waitcnt vmcnt(8) lgkmcnt(14)
	v_mul_f64 v[207:208], v[137:138], v[46:47]
	v_mul_f64 v[46:47], v[135:136], v[46:47]
	s_waitcnt vmcnt(7) lgkmcnt(13)
	v_mul_f64 v[209:210], v[141:142], v[50:51]
	v_mul_f64 v[50:51], v[139:140], v[50:51]
	;; [unrolled: 12-line block ×3, first 2 shown]
	s_waitcnt vmcnt(2) lgkmcnt(7)
	v_mul_f64 v[217:218], v[165:166], v[70:71]
	v_mul_f64 v[70:71], v[163:164], v[70:71]
	s_waitcnt vmcnt(0) lgkmcnt(6)
	v_mul_f64 v[219:220], v[169:170], v[78:79]
	v_mul_f64 v[78:79], v[167:168], v[78:79]
	v_fma_f64 v[82:83], v[96:97], v[4:5], -v[82:83]
	v_fma_f64 v[96:97], v[98:99], v[4:5], v[6:7]
	v_mul_f64 v[98:99], v[161:162], v[74:75]
	v_mul_f64 v[74:75], v[159:160], v[74:75]
	v_fma_f64 v[84:85], v[92:93], v[8:9], -v[84:85]
	v_fma_f64 v[92:93], v[94:95], v[8:9], v[10:11]
	v_fma_f64 v[86:87], v[100:101], v[12:13], -v[86:87]
	v_fma_f64 v[94:95], v[102:103], v[12:13], v[14:15]
	;; [unrolled: 2-line block ×17, first 2 shown]
	ds_load_b128 v[0:3], v114 offset:7776
	ds_load_b128 v[4:7], v114 offset:9072
	;; [unrolled: 1-line block ×4, first 2 shown]
	v_fma_f64 v[64:65], v[159:160], v[72:73], -v[98:99]
	v_fma_f64 v[66:67], v[161:162], v[72:73], v[74:75]
	v_add_f64 v[72:73], v[80:81], v[82:83]
	v_add_f64 v[74:75], v[88:89], v[96:97]
	v_add_f64 v[90:91], v[84:85], v[86:87]
	v_add_f64 v[98:99], v[92:93], v[94:95]
	s_waitcnt lgkmcnt(9)
	v_add_f64 v[76:77], v[173:174], v[88:89]
	v_add_f64 v[78:79], v[171:172], v[80:81]
	v_add_f64 v[112:113], v[100:101], v[102:103]
	v_add_f64 v[115:116], v[16:17], v[104:105]
	s_waitcnt lgkmcnt(8)
	;; [unrolled: 5-line block ×5, first 2 shown]
	v_add_f64 v[165:166], v[0:1], v[40:41]
	v_add_f64 v[163:164], v[2:3], v[42:43]
	;; [unrolled: 1-line block ×4, first 2 shown]
	v_add_f64 v[167:168], v[42:43], -v[46:47]
	v_add_f64 v[169:170], v[40:41], -v[44:45]
	v_add_f64 v[40:41], v[48:49], v[52:53]
	v_add_f64 v[42:43], v[50:51], v[54:55]
	s_waitcnt lgkmcnt(2)
	v_add_f64 v[195:196], v[6:7], v[50:51]
	v_add_f64 v[197:198], v[4:5], v[48:49]
	v_add_f64 v[199:200], v[50:51], -v[54:55]
	v_add_f64 v[201:202], v[48:49], -v[52:53]
	v_add_f64 v[48:49], v[56:57], v[60:61]
	v_add_f64 v[50:51], v[58:59], v[62:63]
	s_waitcnt lgkmcnt(1)
	v_add_f64 v[203:204], v[10:11], v[58:59]
	v_add_f64 v[205:206], v[8:9], v[56:57]
	v_add_f64 v[207:208], v[58:59], -v[62:63]
	v_add_f64 v[209:210], v[56:57], -v[60:61]
	v_add_f64 v[56:57], v[64:65], v[68:69]
	v_add_f64 v[58:59], v[66:67], v[70:71]
	v_add_f64 v[139:140], v[189:190], v[24:25]
	v_add_f64 v[141:142], v[187:188], v[22:23]
	v_add_f64 v[151:152], v[193:194], v[30:31]
	v_add_f64 v[153:154], v[191:192], v[26:27]
	s_waitcnt lgkmcnt(0)
	v_add_f64 v[211:212], v[14:15], v[66:67]
	v_add_f64 v[213:214], v[12:13], v[64:65]
	v_add_f64 v[88:89], v[88:89], -v[96:97]
	v_add_f64 v[80:81], v[80:81], -v[82:83]
	;; [unrolled: 1-line block ×4, first 2 shown]
	v_fma_f64 v[64:65], v[72:73], -0.5, v[171:172]
	v_fma_f64 v[66:67], v[74:75], -0.5, v[173:174]
	v_add_f64 v[92:93], v[92:93], -v[94:95]
	v_add_f64 v[84:85], v[84:85], -v[86:87]
	v_fma_f64 v[72:73], v[90:91], -0.5, v[175:176]
	v_fma_f64 v[74:75], v[98:99], -0.5, v[177:178]
	v_add_f64 v[121:122], v[16:17], -v[104:105]
	v_add_f64 v[100:101], v[100:101], -v[102:103]
	;; [unrolled: 1-line block ×3, first 2 shown]
	v_add_f64 v[18:19], v[76:77], v[96:97]
	v_add_f64 v[16:17], v[78:79], v[82:83]
	v_fma_f64 v[76:77], v[112:113], -0.5, v[179:180]
	v_fma_f64 v[78:79], v[115:116], -0.5, v[181:182]
	v_add_f64 v[131:132], v[20:21], -v[28:29]
	v_add_f64 v[20:21], v[110:111], v[86:87]
	v_fma_f64 v[82:83], v[123:124], -0.5, v[183:184]
	v_fma_f64 v[86:87], v[125:126], -0.5, v[185:186]
	v_add_f64 v[143:144], v[24:25], -v[34:35]
	v_add_f64 v[145:146], v[22:23], -v[32:33]
	v_add_f64 v[22:23], v[108:109], v[94:95]
	v_fma_f64 v[90:91], v[135:136], -0.5, v[187:188]
	v_fma_f64 v[94:95], v[137:138], -0.5, v[189:190]
	v_add_f64 v[155:156], v[30:31], -v[38:39]
	v_add_f64 v[157:158], v[26:27], -v[36:37]
	v_fma_f64 v[96:97], v[147:148], -0.5, v[191:192]
	v_fma_f64 v[98:99], v[149:150], -0.5, v[193:194]
	v_add_f64 v[26:27], v[117:118], v[104:105]
	v_add_f64 v[24:25], v[119:120], v[102:103]
	v_fma_f64 v[102:103], v[159:160], -0.5, v[0:1]
	v_fma_f64 v[104:105], v[161:162], -0.5, v[2:3]
	v_add_f64 v[30:31], v[127:128], v[28:29]
	v_add_f64 v[28:29], v[129:130], v[106:107]
	v_fma_f64 v[106:107], v[40:41], -0.5, v[4:5]
	v_fma_f64 v[110:111], v[42:43], -0.5, v[6:7]
	;; [unrolled: 1-line block ×6, first 2 shown]
	v_add_f64 v[34:35], v[139:140], v[34:35]
	v_add_f64 v[32:33], v[141:142], v[32:33]
	;; [unrolled: 1-line block ×12, first 2 shown]
	v_fma_f64 v[40:41], v[88:89], s[4:5], v[64:65]
	v_fma_f64 v[42:43], v[80:81], s[10:11], v[66:67]
	;; [unrolled: 1-line block ×40, first 2 shown]
	s_barrier
	buffer_gl0_inv
	ds_store_b128 v114, v[16:19]
	ds_store_b128 v114, v[20:23] offset:1296
	ds_store_b128 v114, v[24:27] offset:2592
	;; [unrolled: 1-line block ×29, first 2 shown]
	s_waitcnt lgkmcnt(0)
	s_barrier
	buffer_gl0_inv
	s_and_saveexec_b32 s0, vcc_lo
	s_cbranch_execz .LBB0_21
; %bb.20:
	scratch_load_b64 v[4:5], off, off       ; 8-byte Folded Reload
	v_mov_b32_e32 v36, v221
	s_waitcnt vmcnt(0)
	v_mul_lo_u32 v2, s3, v4
	v_mul_lo_u32 v3, s2, v5
	v_mad_u64_u32 v[0:1], null, s2, v4, 0
	scratch_load_b64 v[4:5], off, off offset:60 ; 8-byte Folded Reload
	v_add3_u32 v1, v1, v3, v2
	scratch_load_b64 v[2:3], off, off offset:8 ; 8-byte Folded Reload
	v_lshlrev_b64 v[12:13], 4, v[0:1]
	s_delay_alu instid0(VALU_DEP_1) | instskip(NEXT) | instid1(VALU_DEP_2)
	v_add_co_u32 v12, vcc_lo, s6, v12
	v_add_co_ci_u32_e32 v13, vcc_lo, s7, v13, vcc_lo
	s_waitcnt vmcnt(1)
	v_mov_b32_e32 v35, v4
	s_delay_alu instid0(VALU_DEP_1)
	v_lshlrev_b64 v[10:11], 4, v[35:36]
	v_lshl_add_u32 v34, v35, 4, 0
	s_waitcnt vmcnt(0)
	v_lshlrev_b64 v[8:9], 4, v[2:3]
	v_add_nc_u32_e32 v220, 0x51, v35
	ds_load_b128 v[0:3], v34
	ds_load_b128 v[4:7], v34 offset:1296
	v_add_co_u32 v36, vcc_lo, v12, v8
	v_add_co_ci_u32_e32 v37, vcc_lo, v13, v9, vcc_lo
	v_lshlrev_b64 v[16:17], 4, v[220:221]
	s_delay_alu instid0(VALU_DEP_3) | instskip(SKIP_1) | instid1(VALU_DEP_4)
	v_add_co_u32 v20, vcc_lo, v36, v10
	v_add_nc_u32_e32 v220, 0xa2, v35
	v_add_co_ci_u32_e32 v21, vcc_lo, v37, v11, vcc_lo
	ds_load_b128 v[8:11], v34 offset:2592
	ds_load_b128 v[12:15], v34 offset:3888
	v_add_co_u32 v16, vcc_lo, v36, v16
	v_lshlrev_b64 v[18:19], 4, v[220:221]
	v_add_nc_u32_e32 v220, 0xf3, v35
	v_add_co_ci_u32_e32 v17, vcc_lo, v37, v17, vcc_lo
	s_delay_alu instid0(VALU_DEP_2) | instskip(SKIP_3) | instid1(VALU_DEP_4)
	v_lshlrev_b64 v[22:23], 4, v[220:221]
	v_add_nc_u32_e32 v220, 0x144, v35
	v_add_co_u32 v18, vcc_lo, v36, v18
	v_add_co_ci_u32_e32 v19, vcc_lo, v37, v19, vcc_lo
	v_add_co_u32 v22, vcc_lo, v36, v22
	s_delay_alu instid0(VALU_DEP_4)
	v_lshlrev_b64 v[24:25], 4, v[220:221]
	v_add_nc_u32_e32 v220, 0x195, v35
	v_add_co_ci_u32_e32 v23, vcc_lo, v37, v23, vcc_lo
	s_waitcnt lgkmcnt(3)
	global_store_b128 v[20:21], v[0:3], off
	s_waitcnt lgkmcnt(2)
	global_store_b128 v[16:17], v[4:7], off
	s_waitcnt lgkmcnt(1)
	global_store_b128 v[18:19], v[8:11], off
	s_waitcnt lgkmcnt(0)
	global_store_b128 v[22:23], v[12:15], off
	ds_load_b128 v[0:3], v34 offset:5184
	ds_load_b128 v[4:7], v34 offset:6480
	v_lshlrev_b64 v[16:17], 4, v[220:221]
	v_add_nc_u32_e32 v220, 0x1e6, v35
	ds_load_b128 v[8:11], v34 offset:7776
	ds_load_b128 v[12:15], v34 offset:9072
	v_add_co_u32 v18, vcc_lo, v36, v24
	v_add_co_ci_u32_e32 v19, vcc_lo, v37, v25, vcc_lo
	v_lshlrev_b64 v[20:21], 4, v[220:221]
	v_add_nc_u32_e32 v220, 0x237, v35
	v_add_co_u32 v16, vcc_lo, v36, v16
	v_add_co_ci_u32_e32 v17, vcc_lo, v37, v17, vcc_lo
	s_delay_alu instid0(VALU_DEP_3) | instskip(SKIP_3) | instid1(VALU_DEP_4)
	v_lshlrev_b64 v[22:23], 4, v[220:221]
	v_add_nc_u32_e32 v220, 0x288, v35
	v_add_co_u32 v20, vcc_lo, v36, v20
	v_add_co_ci_u32_e32 v21, vcc_lo, v37, v21, vcc_lo
	v_add_co_u32 v22, vcc_lo, v36, v22
	s_delay_alu instid0(VALU_DEP_4)
	v_lshlrev_b64 v[24:25], 4, v[220:221]
	v_add_nc_u32_e32 v220, 0x2d9, v35
	v_add_co_ci_u32_e32 v23, vcc_lo, v37, v23, vcc_lo
	s_waitcnt lgkmcnt(3)
	global_store_b128 v[18:19], v[0:3], off
	s_waitcnt lgkmcnt(2)
	global_store_b128 v[16:17], v[4:7], off
	s_waitcnt lgkmcnt(1)
	global_store_b128 v[20:21], v[8:11], off
	s_waitcnt lgkmcnt(0)
	global_store_b128 v[22:23], v[12:15], off
	ds_load_b128 v[0:3], v34 offset:10368
	ds_load_b128 v[4:7], v34 offset:11664
	v_lshlrev_b64 v[16:17], 4, v[220:221]
	v_add_nc_u32_e32 v220, 0x32a, v35
	ds_load_b128 v[8:11], v34 offset:12960
	ds_load_b128 v[12:15], v34 offset:14256
	v_add_co_u32 v18, vcc_lo, v36, v24
	v_add_co_ci_u32_e32 v19, vcc_lo, v37, v25, vcc_lo
	v_lshlrev_b64 v[20:21], 4, v[220:221]
	v_add_nc_u32_e32 v220, 0x37b, v35
	v_add_co_u32 v16, vcc_lo, v36, v16
	v_add_co_ci_u32_e32 v17, vcc_lo, v37, v17, vcc_lo
	s_delay_alu instid0(VALU_DEP_3) | instskip(SKIP_3) | instid1(VALU_DEP_4)
	;; [unrolled: 30-line block ×4, first 2 shown]
	v_lshlrev_b64 v[22:23], 4, v[220:221]
	v_add_nc_u32_e32 v220, 0x654, v35
	v_add_co_u32 v20, vcc_lo, v36, v20
	v_add_co_ci_u32_e32 v21, vcc_lo, v37, v21, vcc_lo
	v_add_co_u32 v22, vcc_lo, v36, v22
	s_delay_alu instid0(VALU_DEP_4)
	v_lshlrev_b64 v[24:25], 4, v[220:221]
	v_add_nc_u32_e32 v220, 0x6a5, v35
	v_add_co_ci_u32_e32 v23, vcc_lo, v37, v23, vcc_lo
	s_waitcnt lgkmcnt(3)
	global_store_b128 v[18:19], v[0:3], off
	s_waitcnt lgkmcnt(2)
	global_store_b128 v[16:17], v[4:7], off
	;; [unrolled: 2-line block ×4, first 2 shown]
	ds_load_b128 v[0:3], v34 offset:25920
	ds_load_b128 v[4:7], v34 offset:27216
	v_lshlrev_b64 v[16:17], 4, v[220:221]
	v_add_nc_u32_e32 v220, 0x6f6, v35
	ds_load_b128 v[8:11], v34 offset:28512
	ds_load_b128 v[12:15], v34 offset:29808
	v_add_co_u32 v18, vcc_lo, v36, v24
	v_add_co_ci_u32_e32 v19, vcc_lo, v37, v25, vcc_lo
	v_lshlrev_b64 v[20:21], 4, v[220:221]
	v_add_nc_u32_e32 v220, 0x747, v35
	v_add_co_u32 v16, vcc_lo, v36, v16
	v_add_co_ci_u32_e32 v17, vcc_lo, v37, v17, vcc_lo
	s_delay_alu instid0(VALU_DEP_3) | instskip(SKIP_3) | instid1(VALU_DEP_3)
	v_lshlrev_b64 v[22:23], 4, v[220:221]
	v_add_nc_u32_e32 v220, 0x798, v35
	v_add_co_u32 v20, vcc_lo, v36, v20
	v_add_co_ci_u32_e32 v21, vcc_lo, v37, v21, vcc_lo
	v_lshlrev_b64 v[24:25], 4, v[220:221]
	v_add_nc_u32_e32 v220, 0x7e9, v35
	v_add_co_u32 v22, vcc_lo, v36, v22
	v_add_co_ci_u32_e32 v23, vcc_lo, v37, v23, vcc_lo
	s_waitcnt lgkmcnt(3)
	global_store_b128 v[18:19], v[0:3], off
	s_waitcnt lgkmcnt(2)
	global_store_b128 v[16:17], v[4:7], off
	;; [unrolled: 2-line block ×4, first 2 shown]
	v_lshlrev_b64 v[8:9], 4, v[220:221]
	v_add_nc_u32_e32 v220, 0x83a, v35
	v_add_co_u32 v24, vcc_lo, v36, v24
	v_add_co_ci_u32_e32 v25, vcc_lo, v37, v25, vcc_lo
	s_delay_alu instid0(VALU_DEP_3) | instskip(SKIP_3) | instid1(VALU_DEP_4)
	v_lshlrev_b64 v[10:11], 4, v[220:221]
	v_add_co_u32 v26, vcc_lo, v36, v8
	v_add_nc_u32_e32 v220, 0x88b, v35
	v_add_co_ci_u32_e32 v27, vcc_lo, v37, v9, vcc_lo
	v_add_co_u32 v30, vcc_lo, v36, v10
	ds_load_b128 v[0:3], v34 offset:31104
	ds_load_b128 v[4:7], v34 offset:32400
	v_add_co_ci_u32_e32 v31, vcc_lo, v37, v11, vcc_lo
	ds_load_b128 v[8:11], v34 offset:33696
	ds_load_b128 v[12:15], v34 offset:34992
	;; [unrolled: 1-line block ×4, first 2 shown]
	v_lshlrev_b64 v[28:29], 4, v[220:221]
	v_add_nc_u32_e32 v220, 0x8dc, v35
	s_delay_alu instid0(VALU_DEP_1) | instskip(SKIP_1) | instid1(VALU_DEP_4)
	v_lshlrev_b64 v[32:33], 4, v[220:221]
	v_add_nc_u32_e32 v220, 0x92d, v35
	v_add_co_u32 v28, vcc_lo, v36, v28
	v_add_co_ci_u32_e32 v29, vcc_lo, v37, v29, vcc_lo
	s_delay_alu instid0(VALU_DEP_3) | instskip(SKIP_2) | instid1(VALU_DEP_3)
	v_lshlrev_b64 v[34:35], 4, v[220:221]
	v_add_co_u32 v32, vcc_lo, v36, v32
	v_add_co_ci_u32_e32 v33, vcc_lo, v37, v33, vcc_lo
	v_add_co_u32 v34, vcc_lo, v36, v34
	s_delay_alu instid0(VALU_DEP_4)
	v_add_co_ci_u32_e32 v35, vcc_lo, v37, v35, vcc_lo
	s_waitcnt lgkmcnt(5)
	global_store_b128 v[24:25], v[0:3], off
	s_waitcnt lgkmcnt(4)
	global_store_b128 v[26:27], v[4:7], off
	;; [unrolled: 2-line block ×6, first 2 shown]
.LBB0_21:
	s_nop 0
	s_sendmsg sendmsg(MSG_DEALLOC_VGPRS)
	s_endpgm
	.section	.rodata,"a",@progbits
	.p2align	6, 0x0
	.amdhsa_kernel fft_rtc_fwd_len2430_factors_10_3_3_3_3_3_wgs_81_tpt_81_halfLds_dp_op_CI_CI_unitstride_sbrr_C2R_dirReg
		.amdhsa_group_segment_fixed_size 0
		.amdhsa_private_segment_fixed_size 160
		.amdhsa_kernarg_size 104
		.amdhsa_user_sgpr_count 15
		.amdhsa_user_sgpr_dispatch_ptr 0
		.amdhsa_user_sgpr_queue_ptr 0
		.amdhsa_user_sgpr_kernarg_segment_ptr 1
		.amdhsa_user_sgpr_dispatch_id 0
		.amdhsa_user_sgpr_private_segment_size 0
		.amdhsa_wavefront_size32 1
		.amdhsa_uses_dynamic_stack 0
		.amdhsa_enable_private_segment 1
		.amdhsa_system_sgpr_workgroup_id_x 1
		.amdhsa_system_sgpr_workgroup_id_y 0
		.amdhsa_system_sgpr_workgroup_id_z 0
		.amdhsa_system_sgpr_workgroup_info 0
		.amdhsa_system_vgpr_workitem_id 0
		.amdhsa_next_free_vgpr 256
		.amdhsa_next_free_sgpr 27
		.amdhsa_reserve_vcc 1
		.amdhsa_float_round_mode_32 0
		.amdhsa_float_round_mode_16_64 0
		.amdhsa_float_denorm_mode_32 3
		.amdhsa_float_denorm_mode_16_64 3
		.amdhsa_dx10_clamp 1
		.amdhsa_ieee_mode 1
		.amdhsa_fp16_overflow 0
		.amdhsa_workgroup_processor_mode 1
		.amdhsa_memory_ordered 1
		.amdhsa_forward_progress 0
		.amdhsa_shared_vgpr_count 0
		.amdhsa_exception_fp_ieee_invalid_op 0
		.amdhsa_exception_fp_denorm_src 0
		.amdhsa_exception_fp_ieee_div_zero 0
		.amdhsa_exception_fp_ieee_overflow 0
		.amdhsa_exception_fp_ieee_underflow 0
		.amdhsa_exception_fp_ieee_inexact 0
		.amdhsa_exception_int_div_zero 0
	.end_amdhsa_kernel
	.text
.Lfunc_end0:
	.size	fft_rtc_fwd_len2430_factors_10_3_3_3_3_3_wgs_81_tpt_81_halfLds_dp_op_CI_CI_unitstride_sbrr_C2R_dirReg, .Lfunc_end0-fft_rtc_fwd_len2430_factors_10_3_3_3_3_3_wgs_81_tpt_81_halfLds_dp_op_CI_CI_unitstride_sbrr_C2R_dirReg
                                        ; -- End function
	.section	.AMDGPU.csdata,"",@progbits
; Kernel info:
; codeLenInByte = 28444
; NumSgprs: 29
; NumVgprs: 256
; ScratchSize: 160
; MemoryBound: 0
; FloatMode: 240
; IeeeMode: 1
; LDSByteSize: 0 bytes/workgroup (compile time only)
; SGPRBlocks: 3
; VGPRBlocks: 31
; NumSGPRsForWavesPerEU: 29
; NumVGPRsForWavesPerEU: 256
; Occupancy: 5
; WaveLimiterHint : 1
; COMPUTE_PGM_RSRC2:SCRATCH_EN: 1
; COMPUTE_PGM_RSRC2:USER_SGPR: 15
; COMPUTE_PGM_RSRC2:TRAP_HANDLER: 0
; COMPUTE_PGM_RSRC2:TGID_X_EN: 1
; COMPUTE_PGM_RSRC2:TGID_Y_EN: 0
; COMPUTE_PGM_RSRC2:TGID_Z_EN: 0
; COMPUTE_PGM_RSRC2:TIDIG_COMP_CNT: 0
	.text
	.p2alignl 7, 3214868480
	.fill 96, 4, 3214868480
	.type	__hip_cuid_9e8bb2ff6575c371,@object ; @__hip_cuid_9e8bb2ff6575c371
	.section	.bss,"aw",@nobits
	.globl	__hip_cuid_9e8bb2ff6575c371
__hip_cuid_9e8bb2ff6575c371:
	.byte	0                               ; 0x0
	.size	__hip_cuid_9e8bb2ff6575c371, 1

	.ident	"AMD clang version 19.0.0git (https://github.com/RadeonOpenCompute/llvm-project roc-6.4.0 25133 c7fe45cf4b819c5991fe208aaa96edf142730f1d)"
	.section	".note.GNU-stack","",@progbits
	.addrsig
	.addrsig_sym __hip_cuid_9e8bb2ff6575c371
	.amdgpu_metadata
---
amdhsa.kernels:
  - .args:
      - .actual_access:  read_only
        .address_space:  global
        .offset:         0
        .size:           8
        .value_kind:     global_buffer
      - .offset:         8
        .size:           8
        .value_kind:     by_value
      - .actual_access:  read_only
        .address_space:  global
        .offset:         16
        .size:           8
        .value_kind:     global_buffer
      - .actual_access:  read_only
        .address_space:  global
        .offset:         24
        .size:           8
        .value_kind:     global_buffer
      - .actual_access:  read_only
        .address_space:  global
        .offset:         32
        .size:           8
        .value_kind:     global_buffer
      - .offset:         40
        .size:           8
        .value_kind:     by_value
      - .actual_access:  read_only
        .address_space:  global
        .offset:         48
        .size:           8
        .value_kind:     global_buffer
      - .actual_access:  read_only
        .address_space:  global
        .offset:         56
        .size:           8
        .value_kind:     global_buffer
      - .offset:         64
        .size:           4
        .value_kind:     by_value
      - .actual_access:  read_only
        .address_space:  global
        .offset:         72
        .size:           8
        .value_kind:     global_buffer
      - .actual_access:  read_only
        .address_space:  global
        .offset:         80
        .size:           8
        .value_kind:     global_buffer
      - .actual_access:  read_only
        .address_space:  global
        .offset:         88
        .size:           8
        .value_kind:     global_buffer
      - .actual_access:  write_only
        .address_space:  global
        .offset:         96
        .size:           8
        .value_kind:     global_buffer
    .group_segment_fixed_size: 0
    .kernarg_segment_align: 8
    .kernarg_segment_size: 104
    .language:       OpenCL C
    .language_version:
      - 2
      - 0
    .max_flat_workgroup_size: 81
    .name:           fft_rtc_fwd_len2430_factors_10_3_3_3_3_3_wgs_81_tpt_81_halfLds_dp_op_CI_CI_unitstride_sbrr_C2R_dirReg
    .private_segment_fixed_size: 160
    .sgpr_count:     29
    .sgpr_spill_count: 0
    .symbol:         fft_rtc_fwd_len2430_factors_10_3_3_3_3_3_wgs_81_tpt_81_halfLds_dp_op_CI_CI_unitstride_sbrr_C2R_dirReg.kd
    .uniform_work_group_size: 1
    .uses_dynamic_stack: false
    .vgpr_count:     256
    .vgpr_spill_count: 61
    .wavefront_size: 32
    .workgroup_processor_mode: 1
amdhsa.target:   amdgcn-amd-amdhsa--gfx1100
amdhsa.version:
  - 1
  - 2
...

	.end_amdgpu_metadata
